;; amdgpu-corpus repo=pytorch/pytorch kind=compiled arch=gfx1030 opt=O3
	.amdgcn_target "amdgcn-amd-amdhsa--gfx1030"
	.amdhsa_code_object_version 6
	.section	.text._ZN2at6native12_GLOBAL__N_137upsample_bicubic2d_out_frame_parallelIddEEviT0_S3_bN5torch10headeronly6detail27GenericPackedTensorAccessorINS6_14TensorAccessorIN3c108ArrayRefIlEEKT_Lm3ENS5_16DefaultPtrTraitsElEENS_6detail16IndexBoundsCheckILm4ElEESD_Lm4ESE_lEENS7_INS8_ISB_SC_Lm3ESE_lEESI_SC_Lm4ESE_lEE,"axG",@progbits,_ZN2at6native12_GLOBAL__N_137upsample_bicubic2d_out_frame_parallelIddEEviT0_S3_bN5torch10headeronly6detail27GenericPackedTensorAccessorINS6_14TensorAccessorIN3c108ArrayRefIlEEKT_Lm3ENS5_16DefaultPtrTraitsElEENS_6detail16IndexBoundsCheckILm4ElEESD_Lm4ESE_lEENS7_INS8_ISB_SC_Lm3ESE_lEESI_SC_Lm4ESE_lEE,comdat
	.globl	_ZN2at6native12_GLOBAL__N_137upsample_bicubic2d_out_frame_parallelIddEEviT0_S3_bN5torch10headeronly6detail27GenericPackedTensorAccessorINS6_14TensorAccessorIN3c108ArrayRefIlEEKT_Lm3ENS5_16DefaultPtrTraitsElEENS_6detail16IndexBoundsCheckILm4ElEESD_Lm4ESE_lEENS7_INS8_ISB_SC_Lm3ESE_lEESI_SC_Lm4ESE_lEE ; -- Begin function _ZN2at6native12_GLOBAL__N_137upsample_bicubic2d_out_frame_parallelIddEEviT0_S3_bN5torch10headeronly6detail27GenericPackedTensorAccessorINS6_14TensorAccessorIN3c108ArrayRefIlEEKT_Lm3ENS5_16DefaultPtrTraitsElEENS_6detail16IndexBoundsCheckILm4ElEESD_Lm4ESE_lEENS7_INS8_ISB_SC_Lm3ESE_lEESI_SC_Lm4ESE_lEE
	.p2align	8
	.type	_ZN2at6native12_GLOBAL__N_137upsample_bicubic2d_out_frame_parallelIddEEviT0_S3_bN5torch10headeronly6detail27GenericPackedTensorAccessorINS6_14TensorAccessorIN3c108ArrayRefIlEEKT_Lm3ENS5_16DefaultPtrTraitsElEENS_6detail16IndexBoundsCheckILm4ElEESD_Lm4ESE_lEENS7_INS8_ISB_SC_Lm3ESE_lEESI_SC_Lm4ESE_lEE,@function
_ZN2at6native12_GLOBAL__N_137upsample_bicubic2d_out_frame_parallelIddEEviT0_S3_bN5torch10headeronly6detail27GenericPackedTensorAccessorINS6_14TensorAccessorIN3c108ArrayRefIlEEKT_Lm3ENS5_16DefaultPtrTraitsElEENS_6detail16IndexBoundsCheckILm4ElEESD_Lm4ESE_lEENS7_INS8_ISB_SC_Lm3ESE_lEESI_SC_Lm4ESE_lEE: ; @_ZN2at6native12_GLOBAL__N_137upsample_bicubic2d_out_frame_parallelIddEEviT0_S3_bN5torch10headeronly6detail27GenericPackedTensorAccessorINS6_14TensorAccessorIN3c108ArrayRefIlEEKT_Lm3ENS5_16DefaultPtrTraitsElEENS_6detail16IndexBoundsCheckILm4ElEESD_Lm4ESE_lEENS7_INS8_ISB_SC_Lm3ESE_lEESI_SC_Lm4ESE_lEE
; %bb.0:
	s_clause 0x1
	s_load_dword s0, s[4:5], 0xbc
	s_load_dword s1, s[4:5], 0x0
	s_add_u32 s34, s4, 0xb0
	s_addc_u32 s35, s5, 0
	s_waitcnt lgkmcnt(0)
	s_and_b32 s0, s0, 0xffff
	v_mad_u64_u32 v[0:1], null, s6, s0, v[0:1]
	s_mov_b32 s0, exec_lo
	v_cmpx_gt_i32_e64 s1, v0
	s_cbranch_execz .LBB0_18
; %bb.1:
	s_load_dwordx4 s[0:3], s[4:5], 0x80
	v_sub_nc_u32_e32 v3, 0, v0
	s_load_dwordx8 s[12:19], s[4:5], 0x28
	v_max_i32_e32 v3, v0, v3
	s_waitcnt lgkmcnt(0)
	s_abs_i32 s1, s2
	s_mul_i32 s15, s14, s12
	v_cvt_f32_u32_e32 v1, s1
	s_sub_i32 s3, 0, s1
	s_cmp_lg_u32 s16, s0
	s_mov_b32 s0, -1
	v_rcp_iflag_f32_e32 v1, v1
	v_mul_f32_e32 v1, 0x4f7ffffe, v1
	v_cvt_u32_f32_e32 v1, v1
	v_mul_lo_u32 v2, s3, v1
	v_mul_hi_u32 v2, v1, v2
	v_add_nc_u32_e32 v1, v1, v2
	v_mul_hi_u32 v1, v3, v1
	v_mul_lo_u32 v2, v1, s1
	v_sub_nc_u32_e32 v2, v3, v2
	v_add_nc_u32_e32 v3, 1, v1
	v_subrev_nc_u32_e32 v4, s1, v2
	v_cmp_le_u32_e32 vcc_lo, s1, v2
	v_cndmask_b32_e32 v1, v1, v3, vcc_lo
	v_cndmask_b32_e32 v2, v2, v4, vcc_lo
	v_xor_b32_e32 v3, s2, v0
	v_add_nc_u32_e32 v4, 1, v1
	v_cmp_le_u32_e32 vcc_lo, s1, v2
	v_ashrrev_i32_e32 v3, 31, v3
	s_cselect_b32 s1, -1, 0
	s_cmp_lg_u32 s18, s2
	v_cndmask_b32_e32 v1, v1, v4, vcc_lo
	v_xor_b32_e32 v1, v1, v3
	v_sub_nc_u32_e32 v36, v1, v3
	v_mul_lo_u32 v1, v36, s2
	s_cselect_b32 s2, -1, 0
	s_or_b32 s1, s2, s1
	s_and_b32 vcc_lo, exec_lo, s1
	v_sub_nc_u32_e32 v37, v0, v1
	s_cbranch_vccz .LBB0_14
; %bb.2:
	s_clause 0x1
	s_load_dword s6, s[4:5], 0x18
	s_load_dwordx4 s[0:3], s[4:5], 0x8
	v_cvt_f64_i32_e32 v[2:3], v37
	s_mov_b32 s8, -1
                                        ; implicit-def: $vgpr0_vgpr1
	s_waitcnt lgkmcnt(0)
	s_bitcmp1_b32 s6, 0
	s_cselect_b32 s6, -1, 0
	s_xor_b32 s6, s6, -1
	s_and_b32 vcc_lo, exec_lo, s6
	s_cbranch_vccnz .LBB0_6
; %bb.3:
	s_andn2_b32 vcc_lo, exec_lo, s8
	s_cbranch_vccz .LBB0_7
.LBB0_4:
	v_cvt_f64_i32_e32 v[4:5], v36
	s_and_b32 vcc_lo, exec_lo, s6
	s_cbranch_vccz .LBB0_8
.LBB0_5:
	v_add_f64 v[2:3], v[4:5], 0.5
	v_fma_f64 v[2:3], s[0:1], v[2:3], -0.5
	s_cbranch_execz .LBB0_9
	s_branch .LBB0_10
.LBB0_6:
	v_add_f64 v[0:1], v[2:3], 0.5
	v_fma_f64 v[0:1], s[2:3], v[0:1], -0.5
	s_cbranch_execnz .LBB0_4
.LBB0_7:
	v_mul_f64 v[0:1], s[2:3], v[2:3]
	v_cvt_f64_i32_e32 v[4:5], v36
	s_and_b32 vcc_lo, exec_lo, s6
	s_cbranch_vccnz .LBB0_5
.LBB0_8:
                                        ; implicit-def: $vgpr2_vgpr3
.LBB0_9:
	v_mul_f64 v[2:3], s[0:1], v[4:5]
.LBB0_10:
	s_cmp_ge_i32 s7, s15
	s_cbranch_scc1 .LBB0_13
; %bb.11:
	v_cvt_f32_f64_e32 v5, v[2:3]
	v_cvt_f32_f64_e32 v4, v[0:1]
	s_abs_i32 s19, s14
	s_load_dwordx8 s[20:27], s[4:5], 0x90
	v_cvt_f32_u32_e32 v6, s19
	v_ashrrev_i32_e32 v7, 31, v36
	v_ashrrev_i32_e32 v8, 31, v37
	s_load_dwordx8 s[36:43], s[4:5], 0x48
	s_add_i32 s8, s18, -1
	v_rcp_iflag_f32_e32 v6, v6
	s_add_i32 s6, s16, -1
	s_mov_b32 s2, 0
	s_mov_b32 s3, 0x3ff40000
	;; [unrolled: 1-line block ×4, first 2 shown]
	s_clause 0x1
	s_load_dwordx2 s[12:13], s[4:5], 0x20
	s_load_dwordx2 s[16:17], s[4:5], 0x68
	s_load_dword s18, s[34:35], 0x8
	v_mul_f32_e32 v6, 0x4f7ffffe, v6
	v_floor_f32_e32 v5, v5
	v_floor_f32_e32 v4, v4
	s_waitcnt lgkmcnt(0)
	v_mul_lo_u32 v10, s24, v7
	v_cvt_u32_f32_e32 v14, v6
	v_mul_lo_u32 v9, s25, v36
	v_cvt_i32_f32_e32 v13, v5
	v_cvt_i32_f32_e32 v12, v4
	v_mad_u64_u32 v[32:33], null, s24, v36, 0
	v_mul_lo_u32 v11, s27, v37
	v_cvt_f64_i32_e32 v[6:7], v13
	v_cvt_f64_i32_e32 v[4:5], v12
	v_mul_lo_u32 v8, s26, v8
	v_mad_u64_u32 v[34:35], null, s26, v37, 0
	v_add3_u32 v33, v33, v10, v9
	v_add_nc_u32_e32 v9, -1, v12
	v_min_i32_e32 v10, s8, v12
	v_readfirstlane_b32 s9, v14
	v_min_i32_e32 v14, s6, v13
	v_add_nc_u32_e32 v15, 1, v13
	v_add3_u32 v35, v35, v8, v11
	v_add_nc_u32_e32 v11, 1, v12
	v_add_nc_u32_e32 v12, 2, v12
	v_add_nc_u32_e32 v8, -1, v13
	v_add_nc_u32_e32 v13, 2, v13
	v_max_i32_e32 v38, 0, v10
	v_min_i32_e32 v10, s8, v11
	v_min_i32_e32 v11, s8, v12
	v_max_i32_e32 v39, 0, v14
	v_min_i32_e32 v9, s8, v9
	v_mad_u64_u32 v[20:21], null, s42, v38, 0
	v_add_f64 v[2:3], v[2:3], -v[6:7]
	v_add_f64 v[0:1], v[0:1], -v[4:5]
	v_min_i32_e32 v4, s6, v15
	v_min_i32_e32 v5, s6, v13
	v_max_i32_e32 v48, 0, v10
	v_max_i32_e32 v50, 0, v11
	v_mad_u64_u32 v[26:27], null, s40, v39, 0
	v_max_i32_e32 v52, 0, v4
	v_max_i32_e32 v53, 0, v5
	v_min_i32_e32 v8, s6, v8
	v_max_i32_e32 v41, 0, v9
	v_mad_u64_u32 v[22:23], null, s42, v48, 0
	v_mov_b32_e32 v9, v27
	v_max_i32_e32 v51, 0, v8
	v_mad_u64_u32 v[18:19], null, s42, v41, 0
	v_mov_b32_e32 v8, v21
	v_mad_u64_u32 v[28:29], null, s40, v52, 0
	v_mad_u64_u32 v[24:25], null, s42, v50, 0
	v_add_f64 v[10:11], -v[2:3], 1.0
	v_fma_f64 v[4:5], v[0:1], s[2:3], 0xc0020000
	v_add_f64 v[6:7], -v[0:1], 1.0
	v_mad_u64_u32 v[13:14], null, s43, v38, v[8:9]
	v_mov_b32_e32 v12, v19
	v_mad_u64_u32 v[16:17], null, s40, v51, 0
	v_mad_u64_u32 v[30:31], null, s40, v53, 0
	v_mov_b32_e32 v8, v23
	v_mad_u64_u32 v[41:42], null, s43, v41, v[12:13]
	v_add_f64 v[42:43], v[2:3], 1.0
	v_mov_b32_e32 v14, v25
	v_mov_b32_e32 v15, v17
	;; [unrolled: 1-line block ×3, first 2 shown]
	v_lshlrev_b64 v[32:33], 3, v[32:33]
	v_lshlrev_b64 v[34:35], 3, v[34:35]
	v_mov_b32_e32 v19, v41
	s_ashr_i32 s24, s14, 31
	v_lshlrev_b64 v[20:21], 3, v[20:21]
	v_mad_u64_u32 v[38:39], null, s41, v39, v[9:10]
	v_add_f64 v[39:40], v[0:1], 1.0
	v_mul_f64 v[4:5], v[0:1], v[4:5]
	v_add_f64 v[44:45], v[6:7], 1.0
	v_add_f64 v[46:47], v[10:11], 1.0
	v_mov_b32_e32 v9, v29
	v_lshlrev_b64 v[18:19], 3, v[18:19]
	v_mov_b32_e32 v27, v38
	s_sub_i32 s26, 0, s14
	s_mov_b32 s27, s7
	v_mad_u64_u32 v[48:49], null, s43, v48, v[8:9]
	v_mad_u64_u32 v[49:50], null, s43, v50, v[14:15]
	v_mov_b32_e32 v8, v31
	v_mad_u64_u32 v[50:51], null, s41, v51, v[15:16]
	v_mad_u64_u32 v[51:52], null, s41, v52, v[9:10]
	;; [unrolled: 1-line block ×3, first 2 shown]
	v_mov_b32_e32 v23, v48
	v_mov_b32_e32 v25, v49
	v_fma_f64 v[8:9], v[2:3], s[2:3], 0xc0020000
	v_fma_f64 v[12:13], v[39:40], s[0:1], 0x400e0000
	;; [unrolled: 1-line block ×5, first 2 shown]
	v_fma_f64 v[0:1], v[0:1], v[4:5], 1.0
	v_fma_f64 v[4:5], v[44:45], s[0:1], 0x400e0000
	v_fma_f64 v[55:56], v[46:47], s[0:1], 0x400e0000
	v_mov_b32_e32 v17, v50
	v_mov_b32_e32 v29, v51
	;; [unrolled: 1-line block ×3, first 2 shown]
	s_sub_i32 s0, 0, s19
	v_lshlrev_b64 v[22:23], 3, v[22:23]
	s_mul_i32 s0, s0, s9
	v_lshlrev_b64 v[16:17], 3, v[16:17]
	v_lshlrev_b64 v[24:25], 3, v[24:25]
	;; [unrolled: 1-line block ×5, first 2 shown]
	s_mul_hi_u32 s0, s9, s0
	s_add_i32 s25, s9, s0
	v_mul_f64 v[8:9], v[2:3], v[8:9]
	v_fma_f64 v[12:13], v[39:40], v[12:13], 0xc0180000
	v_mul_f64 v[14:15], v[6:7], v[14:15]
	v_fma_f64 v[48:49], v[42:43], v[48:49], 0xc0180000
	;; [unrolled: 2-line block ×3, first 2 shown]
	v_fma_f64 v[55:56], v[46:47], v[55:56], 0xc0180000
	v_fma_f64 v[2:3], v[2:3], v[8:9], 1.0
	v_fma_f64 v[4:5], v[39:40], v[12:13], 0x40080000
	v_fma_f64 v[6:7], v[6:7], v[14:15], 1.0
	;; [unrolled: 2-line block ×3, first 2 shown]
	v_fma_f64 v[12:13], v[44:45], v[57:58], 0x40080000
	v_fma_f64 v[14:15], v[46:47], v[55:56], 0x40080000
.LBB0_12:                               ; =>This Inner Loop Header: Depth=1
	s_abs_i32 s0, s27
	s_ashr_i32 s1, s27, 31
	s_mul_hi_u32 s2, s0, s25
	s_xor_b32 s1, s1, s24
	s_mul_i32 s3, s2, s19
	s_add_i32 s6, s2, 1
	s_sub_i32 s0, s0, s3
	s_sub_i32 s3, s0, s19
	s_cmp_ge_u32 s0, s19
	s_cselect_b32 s2, s6, s2
	s_cselect_b32 s0, s3, s0
	s_add_i32 s3, s2, 1
	s_cmp_ge_u32 s0, s19
	s_cselect_b32 s0, s3, s2
	s_xor_b32 s0, s0, s1
	s_sub_i32 s29, s0, s1
	s_ashr_i32 s30, s29, 31
	s_mul_i32 s1, s26, s29
	s_mul_hi_u32 s2, s36, s29
	s_mul_i32 s6, s36, s30
	s_mul_i32 s3, s37, s29
	s_add_i32 s28, s27, s1
	s_add_i32 s1, s2, s6
	s_mul_i32 s0, s36, s29
	s_add_i32 s1, s1, s3
	s_mul_hi_u32 s6, s38, s28
	s_lshl_b64 s[0:1], s[0:1], 3
	s_mul_i32 s8, s39, s28
	s_add_u32 s9, s12, s0
	s_addc_u32 s10, s13, s1
	s_ashr_i32 s31, s28, 31
	s_mul_i32 s2, s38, s28
	s_mul_i32 s0, s38, s31
	s_add_i32 s0, s6, s0
	s_add_i32 s3, s0, s8
	s_lshl_b64 s[0:1], s[2:3], 3
	s_add_u32 s2, s9, s0
	s_addc_u32 s33, s10, s1
	v_add_co_u32 v45, vcc_lo, s2, v26
	v_add_co_u32 v51, s0, s2, v28
	v_add_co_u32 v60, s1, s2, v30
	;; [unrolled: 1-line block ×3, first 2 shown]
	v_add_co_ci_u32_e64 v43, null, s33, v17, s2
	v_add_co_ci_u32_e64 v49, null, s33, v27, vcc_lo
	v_add_co_u32 v38, vcc_lo, v39, v20
	v_add_co_u32 v53, s11, v39, v18
	v_add_co_ci_u32_e64 v55, null, s33, v29, s0
	v_add_co_u32 v40, s0, v39, v22
	v_add_co_u32 v42, s2, v39, v24
	v_add_co_ci_u32_e64 v39, null, v43, v21, vcc_lo
	v_add_co_ci_u32_e64 v54, null, v43, v19, s11
	v_add_co_ci_u32_e64 v41, null, v43, v23, s0
	v_add_co_u32 v44, s3, v45, v20
	v_add_co_ci_u32_e64 v43, null, v43, v25, s2
	v_add_co_u32 v56, s0, v45, v18
	v_add_co_u32 v46, s6, v45, v22
	;; [unrolled: 1-line block ×3, first 2 shown]
	s_clause 0x3
	global_load_dwordx2 v[38:39], v[38:39], off
	global_load_dwordx2 v[53:54], v[53:54], off
	;; [unrolled: 1-line block ×4, first 2 shown]
	v_add_co_ci_u32_e64 v45, null, v49, v21, s3
	v_add_co_ci_u32_e64 v57, null, v49, v19, s0
	;; [unrolled: 1-line block ×4, first 2 shown]
	s_clause 0x3
	global_load_dwordx2 v[44:45], v[44:45], off
	global_load_dwordx2 v[56:57], v[56:57], off
	;; [unrolled: 1-line block ×4, first 2 shown]
	v_add_co_u32 v50, s9, v51, v20
	v_add_co_u32 v58, s0, v51, v18
	;; [unrolled: 1-line block ×3, first 2 shown]
	v_add_co_ci_u32_e64 v59, null, v55, v19, s0
	v_add_co_ci_u32_e64 v61, null, s33, v31, s1
	s_mul_i32 s6, s20, s30
	s_mul_i32 s3, s21, s29
	s_mul_hi_u32 s8, s22, s28
	s_mul_i32 s2, s22, s28
	s_waitcnt vmcnt(7)
	v_mul_f64 v[38:39], v[0:1], v[38:39]
	s_waitcnt vmcnt(3)
	v_mul_f64 v[44:45], v[0:1], v[44:45]
	v_fma_f64 v[38:39], v[4:5], v[53:54], v[38:39]
	v_add_co_u32 v54, vcc_lo, v51, v24
	v_add_co_ci_u32_e64 v51, null, v55, v21, s9
	v_add_co_ci_u32_e64 v53, null, v55, v23, s10
	v_add_co_ci_u32_e64 v55, null, v55, v25, vcc_lo
	s_waitcnt vmcnt(2)
	v_fma_f64 v[44:45], v[4:5], v[56:57], v[44:45]
	s_clause 0x3
	global_load_dwordx2 v[50:51], v[50:51], off
	global_load_dwordx2 v[57:58], v[58:59], off
	;; [unrolled: 1-line block ×4, first 2 shown]
	v_add_co_u32 v56, vcc_lo, v60, v20
	s_mul_i32 s10, s22, s31
	s_mul_i32 s9, s23, s28
	v_fma_f64 v[38:39], v[6:7], v[40:41], v[38:39]
	v_add_co_u32 v40, s1, v60, v18
	v_add_co_ci_u32_e64 v41, null, v61, v19, s1
	s_mul_hi_u32 s1, s20, s29
	s_add_i32 s1, s1, s6
	s_waitcnt vmcnt(5)
	v_fma_f64 v[44:45], v[6:7], v[46:47], v[44:45]
	s_add_i32 s1, s1, s3
	v_fma_f64 v[38:39], v[12:13], v[42:43], v[38:39]
	s_waitcnt vmcnt(4)
	v_fma_f64 v[44:45], v[12:13], v[48:49], v[44:45]
	v_mul_f64 v[38:39], v[8:9], v[38:39]
	v_fma_f64 v[38:39], v[2:3], v[44:45], v[38:39]
	s_waitcnt vmcnt(3)
	v_mul_f64 v[50:51], v[0:1], v[50:51]
	s_waitcnt vmcnt(2)
	v_fma_f64 v[50:51], v[4:5], v[57:58], v[50:51]
	v_add_co_u32 v58, s0, v60, v22
	v_add_co_ci_u32_e64 v57, null, v61, v21, vcc_lo
	v_add_co_u32 v60, vcc_lo, v60, v24
	v_add_co_ci_u32_e64 v59, null, v61, v23, s0
	v_add_co_ci_u32_e64 v61, null, v61, v25, vcc_lo
	s_clause 0x3
	global_load_dwordx2 v[56:57], v[56:57], off
	global_load_dwordx2 v[40:41], v[40:41], off
	;; [unrolled: 1-line block ×4, first 2 shown]
	s_mul_i32 s0, s20, s29
	s_lshl_b64 s[0:1], s[0:1], 3
	s_add_u32 s6, s16, s0
	s_addc_u32 s11, s17, s1
	s_add_i32 s0, s8, s10
	s_add_i32 s3, s0, s9
	s_waitcnt vmcnt(5)
	v_fma_f64 v[42:43], v[6:7], v[52:53], v[50:51]
	s_lshl_b64 s[0:1], s[2:3], 3
	s_add_u32 s0, s6, s0
	s_addc_u32 s1, s11, s1
	s_add_i32 s27, s27, s18
	s_cmp_lt_i32 s27, s15
	s_waitcnt vmcnt(4)
	v_fma_f64 v[42:43], v[12:13], v[54:55], v[42:43]
	v_fma_f64 v[38:39], v[10:11], v[42:43], v[38:39]
	s_waitcnt vmcnt(3)
	v_mul_f64 v[56:57], v[0:1], v[56:57]
	s_waitcnt vmcnt(2)
	v_fma_f64 v[40:41], v[4:5], v[40:41], v[56:57]
	s_waitcnt vmcnt(1)
	v_fma_f64 v[40:41], v[6:7], v[58:59], v[40:41]
	;; [unrolled: 2-line block ×3, first 2 shown]
	v_fma_f64 v[38:39], v[14:15], v[40:41], v[38:39]
	v_add_co_u32 v40, vcc_lo, s0, v32
	v_add_co_ci_u32_e64 v41, null, s1, v33, vcc_lo
	v_add_co_u32 v40, vcc_lo, v40, v34
	v_add_co_ci_u32_e64 v41, null, v41, v35, vcc_lo
	global_store_dwordx2 v[40:41], v[38:39], off
	s_cbranch_scc1 .LBB0_12
.LBB0_13:
	s_mov_b32 s0, 0
.LBB0_14:
	s_and_b32 vcc_lo, exec_lo, s0
	s_cbranch_vccz .LBB0_18
; %bb.15:
	s_cmp_ge_i32 s7, s15
	s_cbranch_scc1 .LBB0_18
; %bb.16:
	s_abs_i32 s6, s14
	s_load_dwordx8 s[16:23], s[4:5], 0x48
	v_cvt_f32_u32_e32 v0, s6
	s_load_dwordx8 s[24:31], s[4:5], 0x90
	v_ashrrev_i32_e32 v4, 31, v36
	v_ashrrev_i32_e32 v6, 31, v37
	s_load_dwordx2 s[0:1], s[4:5], 0x20
	v_rcp_iflag_f32_e32 v0, v0
	s_load_dwordx2 s[2:3], s[4:5], 0x68
	s_load_dword s4, s[34:35], 0x8
	s_sub_i32 s5, 0, s6
	v_mul_f32_e32 v7, 0x4f7ffffe, v0
	s_waitcnt lgkmcnt(0)
	v_mul_lo_u32 v8, s21, v36
	v_mul_lo_u32 v9, s20, v4
	v_mad_u64_u32 v[0:1], null, s20, v36, 0
	v_mul_lo_u32 v10, s23, v37
	v_mul_lo_u32 v11, s22, v6
	v_mad_u64_u32 v[2:3], null, s22, v37, 0
	;; [unrolled: 3-line block ×3, first 2 shown]
	v_mul_lo_u32 v14, s31, v37
	v_mul_lo_u32 v15, s30, v6
	v_cvt_u32_f32_e32 v16, v7
	v_mad_u64_u32 v[6:7], null, s30, v37, 0
	v_add3_u32 v1, v1, v9, v8
	v_add3_u32 v3, v3, v11, v10
	v_readfirstlane_b32 s8, v16
	v_add3_u32 v5, v5, v13, v12
	v_lshlrev_b64 v[0:1], 3, v[0:1]
	v_add3_u32 v7, v7, v15, v14
	s_mul_i32 s5, s5, s8
	v_lshlrev_b64 v[2:3], 3, v[2:3]
	v_lshlrev_b64 v[4:5], 3, v[4:5]
	s_mul_hi_u32 s9, s8, s5
	v_lshlrev_b64 v[6:7], 3, v[6:7]
	s_ashr_i32 s5, s14, 31
	s_add_i32 s8, s8, s9
	s_sub_i32 s9, 0, s14
.LBB0_17:                               ; =>This Inner Loop Header: Depth=1
	s_abs_i32 s10, s7
	s_ashr_i32 s11, s7, 31
	s_mul_hi_u32 s12, s10, s8
	s_xor_b32 s11, s11, s5
	s_mul_i32 s13, s12, s6
	s_add_i32 s14, s12, 1
	s_sub_i32 s10, s10, s13
	s_sub_i32 s13, s10, s6
	s_cmp_ge_u32 s10, s6
	s_cselect_b32 s12, s14, s12
	s_cselect_b32 s10, s13, s10
	s_add_i32 s13, s12, 1
	s_cmp_ge_u32 s10, s6
	s_cselect_b32 s10, s13, s12
	s_xor_b32 s10, s10, s11
	s_sub_i32 s14, s10, s11
	s_ashr_i32 s20, s14, 31
	s_mul_i32 s11, s9, s14
	s_mul_hi_u32 s12, s16, s14
	s_mul_i32 s21, s16, s20
	s_mul_i32 s13, s17, s14
	s_add_i32 s22, s7, s11
	s_add_i32 s11, s12, s21
	s_mul_i32 s10, s16, s14
	s_add_i32 s11, s11, s13
	s_mul_hi_u32 s21, s18, s22
	s_lshl_b64 s[10:11], s[10:11], 3
	s_mul_i32 s23, s19, s22
	s_add_u32 s28, s0, s10
	s_addc_u32 s29, s1, s11
	s_ashr_i32 s30, s22, 31
	s_mul_i32 s12, s18, s22
	s_mul_i32 s10, s18, s30
	s_add_i32 s10, s21, s10
	s_mul_i32 s21, s27, s22
	s_add_i32 s13, s10, s23
	s_lshl_b64 s[10:11], s[12:13], 3
	s_mul_i32 s13, s25, s14
	s_add_u32 s10, s28, s10
	s_addc_u32 s11, s29, s11
	v_add_co_u32 v8, vcc_lo, s10, v0
	v_add_co_ci_u32_e64 v9, null, s11, v1, vcc_lo
	s_mul_hi_u32 s11, s24, s14
	v_add_co_u32 v8, vcc_lo, v8, v2
	v_add_co_ci_u32_e64 v9, null, v9, v3, vcc_lo
	s_mul_i32 s10, s24, s14
	s_mul_i32 s14, s24, s20
	s_mul_hi_u32 s20, s26, s22
	global_load_dwordx2 v[8:9], v[8:9], off
	s_add_i32 s11, s11, s14
	s_mul_i32 s12, s26, s22
	s_add_i32 s11, s11, s13
	s_mul_i32 s22, s26, s30
	s_lshl_b64 s[10:11], s[10:11], 3
	s_add_u32 s14, s2, s10
	s_addc_u32 s23, s3, s11
	s_add_i32 s10, s20, s22
	s_add_i32 s13, s10, s21
	s_lshl_b64 s[10:11], s[12:13], 3
	s_add_u32 s10, s14, s10
	s_addc_u32 s11, s23, s11
	v_add_co_u32 v10, vcc_lo, s10, v4
	v_add_co_ci_u32_e64 v11, null, s11, v5, vcc_lo
	s_add_i32 s7, s7, s4
	v_add_co_u32 v10, vcc_lo, v10, v6
	v_add_co_ci_u32_e64 v11, null, v11, v7, vcc_lo
	s_cmp_ge_i32 s7, s15
	s_waitcnt vmcnt(0)
	global_store_dwordx2 v[10:11], v[8:9], off
	s_cbranch_scc0 .LBB0_17
.LBB0_18:
	s_endpgm
	.section	.rodata,"a",@progbits
	.p2align	6, 0x0
	.amdhsa_kernel _ZN2at6native12_GLOBAL__N_137upsample_bicubic2d_out_frame_parallelIddEEviT0_S3_bN5torch10headeronly6detail27GenericPackedTensorAccessorINS6_14TensorAccessorIN3c108ArrayRefIlEEKT_Lm3ENS5_16DefaultPtrTraitsElEENS_6detail16IndexBoundsCheckILm4ElEESD_Lm4ESE_lEENS7_INS8_ISB_SC_Lm3ESE_lEESI_SC_Lm4ESE_lEE
		.amdhsa_group_segment_fixed_size 0
		.amdhsa_private_segment_fixed_size 0
		.amdhsa_kernarg_size 432
		.amdhsa_user_sgpr_count 6
		.amdhsa_user_sgpr_private_segment_buffer 1
		.amdhsa_user_sgpr_dispatch_ptr 0
		.amdhsa_user_sgpr_queue_ptr 0
		.amdhsa_user_sgpr_kernarg_segment_ptr 1
		.amdhsa_user_sgpr_dispatch_id 0
		.amdhsa_user_sgpr_flat_scratch_init 0
		.amdhsa_user_sgpr_private_segment_size 0
		.amdhsa_wavefront_size32 1
		.amdhsa_uses_dynamic_stack 0
		.amdhsa_system_sgpr_private_segment_wavefront_offset 0
		.amdhsa_system_sgpr_workgroup_id_x 1
		.amdhsa_system_sgpr_workgroup_id_y 0
		.amdhsa_system_sgpr_workgroup_id_z 1
		.amdhsa_system_sgpr_workgroup_info 0
		.amdhsa_system_vgpr_workitem_id 0
		.amdhsa_next_free_vgpr 62
		.amdhsa_next_free_sgpr 44
		.amdhsa_reserve_vcc 1
		.amdhsa_reserve_flat_scratch 0
		.amdhsa_float_round_mode_32 0
		.amdhsa_float_round_mode_16_64 0
		.amdhsa_float_denorm_mode_32 3
		.amdhsa_float_denorm_mode_16_64 3
		.amdhsa_dx10_clamp 1
		.amdhsa_ieee_mode 1
		.amdhsa_fp16_overflow 0
		.amdhsa_workgroup_processor_mode 1
		.amdhsa_memory_ordered 1
		.amdhsa_forward_progress 1
		.amdhsa_shared_vgpr_count 0
		.amdhsa_exception_fp_ieee_invalid_op 0
		.amdhsa_exception_fp_denorm_src 0
		.amdhsa_exception_fp_ieee_div_zero 0
		.amdhsa_exception_fp_ieee_overflow 0
		.amdhsa_exception_fp_ieee_underflow 0
		.amdhsa_exception_fp_ieee_inexact 0
		.amdhsa_exception_int_div_zero 0
	.end_amdhsa_kernel
	.section	.text._ZN2at6native12_GLOBAL__N_137upsample_bicubic2d_out_frame_parallelIddEEviT0_S3_bN5torch10headeronly6detail27GenericPackedTensorAccessorINS6_14TensorAccessorIN3c108ArrayRefIlEEKT_Lm3ENS5_16DefaultPtrTraitsElEENS_6detail16IndexBoundsCheckILm4ElEESD_Lm4ESE_lEENS7_INS8_ISB_SC_Lm3ESE_lEESI_SC_Lm4ESE_lEE,"axG",@progbits,_ZN2at6native12_GLOBAL__N_137upsample_bicubic2d_out_frame_parallelIddEEviT0_S3_bN5torch10headeronly6detail27GenericPackedTensorAccessorINS6_14TensorAccessorIN3c108ArrayRefIlEEKT_Lm3ENS5_16DefaultPtrTraitsElEENS_6detail16IndexBoundsCheckILm4ElEESD_Lm4ESE_lEENS7_INS8_ISB_SC_Lm3ESE_lEESI_SC_Lm4ESE_lEE,comdat
.Lfunc_end0:
	.size	_ZN2at6native12_GLOBAL__N_137upsample_bicubic2d_out_frame_parallelIddEEviT0_S3_bN5torch10headeronly6detail27GenericPackedTensorAccessorINS6_14TensorAccessorIN3c108ArrayRefIlEEKT_Lm3ENS5_16DefaultPtrTraitsElEENS_6detail16IndexBoundsCheckILm4ElEESD_Lm4ESE_lEENS7_INS8_ISB_SC_Lm3ESE_lEESI_SC_Lm4ESE_lEE, .Lfunc_end0-_ZN2at6native12_GLOBAL__N_137upsample_bicubic2d_out_frame_parallelIddEEviT0_S3_bN5torch10headeronly6detail27GenericPackedTensorAccessorINS6_14TensorAccessorIN3c108ArrayRefIlEEKT_Lm3ENS5_16DefaultPtrTraitsElEENS_6detail16IndexBoundsCheckILm4ElEESD_Lm4ESE_lEENS7_INS8_ISB_SC_Lm3ESE_lEESI_SC_Lm4ESE_lEE
                                        ; -- End function
	.set _ZN2at6native12_GLOBAL__N_137upsample_bicubic2d_out_frame_parallelIddEEviT0_S3_bN5torch10headeronly6detail27GenericPackedTensorAccessorINS6_14TensorAccessorIN3c108ArrayRefIlEEKT_Lm3ENS5_16DefaultPtrTraitsElEENS_6detail16IndexBoundsCheckILm4ElEESD_Lm4ESE_lEENS7_INS8_ISB_SC_Lm3ESE_lEESI_SC_Lm4ESE_lEE.num_vgpr, 62
	.set _ZN2at6native12_GLOBAL__N_137upsample_bicubic2d_out_frame_parallelIddEEviT0_S3_bN5torch10headeronly6detail27GenericPackedTensorAccessorINS6_14TensorAccessorIN3c108ArrayRefIlEEKT_Lm3ENS5_16DefaultPtrTraitsElEENS_6detail16IndexBoundsCheckILm4ElEESD_Lm4ESE_lEENS7_INS8_ISB_SC_Lm3ESE_lEESI_SC_Lm4ESE_lEE.num_agpr, 0
	.set _ZN2at6native12_GLOBAL__N_137upsample_bicubic2d_out_frame_parallelIddEEviT0_S3_bN5torch10headeronly6detail27GenericPackedTensorAccessorINS6_14TensorAccessorIN3c108ArrayRefIlEEKT_Lm3ENS5_16DefaultPtrTraitsElEENS_6detail16IndexBoundsCheckILm4ElEESD_Lm4ESE_lEENS7_INS8_ISB_SC_Lm3ESE_lEESI_SC_Lm4ESE_lEE.numbered_sgpr, 44
	.set _ZN2at6native12_GLOBAL__N_137upsample_bicubic2d_out_frame_parallelIddEEviT0_S3_bN5torch10headeronly6detail27GenericPackedTensorAccessorINS6_14TensorAccessorIN3c108ArrayRefIlEEKT_Lm3ENS5_16DefaultPtrTraitsElEENS_6detail16IndexBoundsCheckILm4ElEESD_Lm4ESE_lEENS7_INS8_ISB_SC_Lm3ESE_lEESI_SC_Lm4ESE_lEE.num_named_barrier, 0
	.set _ZN2at6native12_GLOBAL__N_137upsample_bicubic2d_out_frame_parallelIddEEviT0_S3_bN5torch10headeronly6detail27GenericPackedTensorAccessorINS6_14TensorAccessorIN3c108ArrayRefIlEEKT_Lm3ENS5_16DefaultPtrTraitsElEENS_6detail16IndexBoundsCheckILm4ElEESD_Lm4ESE_lEENS7_INS8_ISB_SC_Lm3ESE_lEESI_SC_Lm4ESE_lEE.private_seg_size, 0
	.set _ZN2at6native12_GLOBAL__N_137upsample_bicubic2d_out_frame_parallelIddEEviT0_S3_bN5torch10headeronly6detail27GenericPackedTensorAccessorINS6_14TensorAccessorIN3c108ArrayRefIlEEKT_Lm3ENS5_16DefaultPtrTraitsElEENS_6detail16IndexBoundsCheckILm4ElEESD_Lm4ESE_lEENS7_INS8_ISB_SC_Lm3ESE_lEESI_SC_Lm4ESE_lEE.uses_vcc, 1
	.set _ZN2at6native12_GLOBAL__N_137upsample_bicubic2d_out_frame_parallelIddEEviT0_S3_bN5torch10headeronly6detail27GenericPackedTensorAccessorINS6_14TensorAccessorIN3c108ArrayRefIlEEKT_Lm3ENS5_16DefaultPtrTraitsElEENS_6detail16IndexBoundsCheckILm4ElEESD_Lm4ESE_lEENS7_INS8_ISB_SC_Lm3ESE_lEESI_SC_Lm4ESE_lEE.uses_flat_scratch, 0
	.set _ZN2at6native12_GLOBAL__N_137upsample_bicubic2d_out_frame_parallelIddEEviT0_S3_bN5torch10headeronly6detail27GenericPackedTensorAccessorINS6_14TensorAccessorIN3c108ArrayRefIlEEKT_Lm3ENS5_16DefaultPtrTraitsElEENS_6detail16IndexBoundsCheckILm4ElEESD_Lm4ESE_lEENS7_INS8_ISB_SC_Lm3ESE_lEESI_SC_Lm4ESE_lEE.has_dyn_sized_stack, 0
	.set _ZN2at6native12_GLOBAL__N_137upsample_bicubic2d_out_frame_parallelIddEEviT0_S3_bN5torch10headeronly6detail27GenericPackedTensorAccessorINS6_14TensorAccessorIN3c108ArrayRefIlEEKT_Lm3ENS5_16DefaultPtrTraitsElEENS_6detail16IndexBoundsCheckILm4ElEESD_Lm4ESE_lEENS7_INS8_ISB_SC_Lm3ESE_lEESI_SC_Lm4ESE_lEE.has_recursion, 0
	.set _ZN2at6native12_GLOBAL__N_137upsample_bicubic2d_out_frame_parallelIddEEviT0_S3_bN5torch10headeronly6detail27GenericPackedTensorAccessorINS6_14TensorAccessorIN3c108ArrayRefIlEEKT_Lm3ENS5_16DefaultPtrTraitsElEENS_6detail16IndexBoundsCheckILm4ElEESD_Lm4ESE_lEENS7_INS8_ISB_SC_Lm3ESE_lEESI_SC_Lm4ESE_lEE.has_indirect_call, 0
	.section	.AMDGPU.csdata,"",@progbits
; Kernel info:
; codeLenInByte = 2892
; TotalNumSgprs: 46
; NumVgprs: 62
; ScratchSize: 0
; MemoryBound: 0
; FloatMode: 240
; IeeeMode: 1
; LDSByteSize: 0 bytes/workgroup (compile time only)
; SGPRBlocks: 0
; VGPRBlocks: 7
; NumSGPRsForWavesPerEU: 46
; NumVGPRsForWavesPerEU: 62
; Occupancy: 16
; WaveLimiterHint : 1
; COMPUTE_PGM_RSRC2:SCRATCH_EN: 0
; COMPUTE_PGM_RSRC2:USER_SGPR: 6
; COMPUTE_PGM_RSRC2:TRAP_HANDLER: 0
; COMPUTE_PGM_RSRC2:TGID_X_EN: 1
; COMPUTE_PGM_RSRC2:TGID_Y_EN: 0
; COMPUTE_PGM_RSRC2:TGID_Z_EN: 1
; COMPUTE_PGM_RSRC2:TIDIG_COMP_CNT: 0
	.section	.text._ZN2at6native12_GLOBAL__N_128upsample_bicubic2d_out_frameIddEEviT0_S3_bN5torch10headeronly6detail27GenericPackedTensorAccessorINS6_14TensorAccessorIN3c108ArrayRefIlEEKT_Lm3ENS5_16DefaultPtrTraitsElEENS_6detail16IndexBoundsCheckILm4ElEESD_Lm4ESE_lEENS7_INS8_ISB_SC_Lm3ESE_lEESI_SC_Lm4ESE_lEE,"axG",@progbits,_ZN2at6native12_GLOBAL__N_128upsample_bicubic2d_out_frameIddEEviT0_S3_bN5torch10headeronly6detail27GenericPackedTensorAccessorINS6_14TensorAccessorIN3c108ArrayRefIlEEKT_Lm3ENS5_16DefaultPtrTraitsElEENS_6detail16IndexBoundsCheckILm4ElEESD_Lm4ESE_lEENS7_INS8_ISB_SC_Lm3ESE_lEESI_SC_Lm4ESE_lEE,comdat
	.globl	_ZN2at6native12_GLOBAL__N_128upsample_bicubic2d_out_frameIddEEviT0_S3_bN5torch10headeronly6detail27GenericPackedTensorAccessorINS6_14TensorAccessorIN3c108ArrayRefIlEEKT_Lm3ENS5_16DefaultPtrTraitsElEENS_6detail16IndexBoundsCheckILm4ElEESD_Lm4ESE_lEENS7_INS8_ISB_SC_Lm3ESE_lEESI_SC_Lm4ESE_lEE ; -- Begin function _ZN2at6native12_GLOBAL__N_128upsample_bicubic2d_out_frameIddEEviT0_S3_bN5torch10headeronly6detail27GenericPackedTensorAccessorINS6_14TensorAccessorIN3c108ArrayRefIlEEKT_Lm3ENS5_16DefaultPtrTraitsElEENS_6detail16IndexBoundsCheckILm4ElEESD_Lm4ESE_lEENS7_INS8_ISB_SC_Lm3ESE_lEESI_SC_Lm4ESE_lEE
	.p2align	8
	.type	_ZN2at6native12_GLOBAL__N_128upsample_bicubic2d_out_frameIddEEviT0_S3_bN5torch10headeronly6detail27GenericPackedTensorAccessorINS6_14TensorAccessorIN3c108ArrayRefIlEEKT_Lm3ENS5_16DefaultPtrTraitsElEENS_6detail16IndexBoundsCheckILm4ElEESD_Lm4ESE_lEENS7_INS8_ISB_SC_Lm3ESE_lEESI_SC_Lm4ESE_lEE,@function
_ZN2at6native12_GLOBAL__N_128upsample_bicubic2d_out_frameIddEEviT0_S3_bN5torch10headeronly6detail27GenericPackedTensorAccessorINS6_14TensorAccessorIN3c108ArrayRefIlEEKT_Lm3ENS5_16DefaultPtrTraitsElEENS_6detail16IndexBoundsCheckILm4ElEESD_Lm4ESE_lEENS7_INS8_ISB_SC_Lm3ESE_lEESI_SC_Lm4ESE_lEE: ; @_ZN2at6native12_GLOBAL__N_128upsample_bicubic2d_out_frameIddEEviT0_S3_bN5torch10headeronly6detail27GenericPackedTensorAccessorINS6_14TensorAccessorIN3c108ArrayRefIlEEKT_Lm3ENS5_16DefaultPtrTraitsElEENS_6detail16IndexBoundsCheckILm4ElEESD_Lm4ESE_lEENS7_INS8_ISB_SC_Lm3ESE_lEESI_SC_Lm4ESE_lEE
; %bb.0:
	s_clause 0x1
	s_load_dword s0, s[4:5], 0xbc
	s_load_dword s1, s[4:5], 0x0
	s_waitcnt lgkmcnt(0)
	s_and_b32 s0, s0, 0xffff
	v_mad_u64_u32 v[0:1], null, s6, s0, v[0:1]
	s_mov_b32 s0, exec_lo
	v_cmpx_gt_i32_e64 s1, v0
	s_cbranch_execz .LBB1_22
; %bb.1:
	s_load_dwordx4 s[0:3], s[4:5], 0x80
	v_sub_nc_u32_e32 v3, 0, v0
	s_load_dwordx8 s[8:15], s[4:5], 0x28
	v_max_i32_e32 v3, v0, v3
	s_waitcnt lgkmcnt(0)
	s_abs_i32 s1, s2
	v_cvt_f32_u32_e32 v1, s1
	s_sub_i32 s3, 0, s1
	s_cmp_lg_u32 s12, s0
	s_cselect_b32 s0, -1, 0
	v_rcp_iflag_f32_e32 v1, v1
	s_cmp_lg_u32 s14, s2
	v_mul_f32_e32 v1, 0x4f7ffffe, v1
	v_cvt_u32_f32_e32 v1, v1
	v_mul_lo_u32 v2, s3, v1
	v_mul_hi_u32 v2, v1, v2
	v_add_nc_u32_e32 v1, v1, v2
	v_mul_hi_u32 v1, v3, v1
	v_mul_lo_u32 v2, v1, s1
	v_sub_nc_u32_e32 v2, v3, v2
	v_add_nc_u32_e32 v3, 1, v1
	v_subrev_nc_u32_e32 v4, s1, v2
	v_cmp_le_u32_e32 vcc_lo, s1, v2
	v_cndmask_b32_e32 v1, v1, v3, vcc_lo
	v_cndmask_b32_e32 v2, v2, v4, vcc_lo
	v_xor_b32_e32 v3, s2, v0
	v_add_nc_u32_e32 v4, 1, v1
	v_cmp_le_u32_e32 vcc_lo, s1, v2
	v_ashrrev_i32_e32 v3, 31, v3
	s_cselect_b32 s1, -1, 0
	s_or_b32 s0, s1, s0
	v_cndmask_b32_e32 v1, v1, v4, vcc_lo
	s_and_b32 vcc_lo, exec_lo, s0
	s_mov_b32 s0, -1
	v_xor_b32_e32 v1, v1, v3
	v_sub_nc_u32_e32 v20, v1, v3
	v_mul_lo_u32 v1, v20, s2
	v_sub_nc_u32_e32 v21, v0, v1
	s_cbranch_vccz .LBB1_16
; %bb.2:
	s_clause 0x1
	s_load_dword s6, s[4:5], 0x18
	s_load_dwordx4 s[0:3], s[4:5], 0x8
	v_cvt_f64_i32_e32 v[2:3], v21
	s_mov_b32 s7, -1
                                        ; implicit-def: $vgpr0_vgpr1
	s_waitcnt lgkmcnt(0)
	s_bitcmp1_b32 s6, 0
	s_cselect_b32 s6, -1, 0
	s_xor_b32 s6, s6, -1
	s_and_b32 vcc_lo, exec_lo, s6
	s_cbranch_vccnz .LBB1_6
; %bb.3:
	s_andn2_b32 vcc_lo, exec_lo, s7
	s_cbranch_vccz .LBB1_7
.LBB1_4:
	v_cvt_f64_i32_e32 v[4:5], v20
	s_and_b32 vcc_lo, exec_lo, s6
	s_cbranch_vccz .LBB1_8
.LBB1_5:
	v_add_f64 v[2:3], v[4:5], 0.5
	v_fma_f64 v[2:3], s[0:1], v[2:3], -0.5
	s_cbranch_execz .LBB1_9
	s_branch .LBB1_10
.LBB1_6:
	v_add_f64 v[0:1], v[2:3], 0.5
	v_fma_f64 v[0:1], s[2:3], v[0:1], -0.5
	s_cbranch_execnz .LBB1_4
.LBB1_7:
	v_mul_f64 v[0:1], s[2:3], v[2:3]
	v_cvt_f64_i32_e32 v[4:5], v20
	s_and_b32 vcc_lo, exec_lo, s6
	s_cbranch_vccnz .LBB1_5
.LBB1_8:
                                        ; implicit-def: $vgpr2_vgpr3
.LBB1_9:
	v_mul_f64 v[2:3], s[0:1], v[4:5]
.LBB1_10:
	s_cmp_lt_i32 s8, 1
	s_cbranch_scc1 .LBB1_15
; %bb.11:
	v_cvt_f32_f64_e32 v4, v[0:1]
	s_load_dwordx8 s[16:23], s[4:5], 0x90
	v_cvt_f32_f64_e32 v5, v[2:3]
	v_ashrrev_i32_e32 v6, 31, v20
	s_cmp_gt_i32 s10, 0
	v_ashrrev_i32_e32 v7, 31, v21
	s_cselect_b32 s11, -1, 0
	s_add_i32 s12, s12, -1
	s_add_i32 s13, s14, -1
	s_clause 0x2
	s_load_dwordx2 s[0:1], s[4:5], 0x20
	s_load_dwordx8 s[24:31], s[4:5], 0x48
	s_load_dwordx2 s[36:37], s[4:5], 0x68
	s_mov_b32 s6, 0
	s_mov_b32 s34, 0
	;; [unrolled: 1-line block ×5, first 2 shown]
	s_waitcnt lgkmcnt(0)
	v_mul_lo_u32 v13, s20, v6
	v_floor_f32_e32 v6, v4
	v_mul_lo_u32 v12, s21, v20
	v_floor_f32_e32 v8, v5
	v_mad_u64_u32 v[4:5], null, s20, v20, 0
	v_cvt_i32_f32_e32 v16, v6
	v_mul_lo_u32 v14, s23, v21
	v_cvt_i32_f32_e32 v17, v8
	v_mul_lo_u32 v15, s22, v7
	v_mad_u64_u32 v[6:7], null, s22, v21, 0
	v_cvt_f64_i32_e32 v[8:9], v16
	v_cvt_f64_i32_e32 v[10:11], v17
	v_add3_u32 v5, v5, v13, v12
	v_add_nc_u32_e32 v12, -1, v17
	v_add_nc_u32_e32 v13, -1, v16
	v_add_nc_u32_e32 v19, 1, v17
	v_add3_u32 v7, v7, v15, v14
	v_min_i32_e32 v14, s13, v16
	v_min_i32_e32 v12, s12, v12
	;; [unrolled: 1-line block ×3, first 2 shown]
	v_add_nc_u32_e32 v15, 1, v16
	v_add_nc_u32_e32 v16, 2, v16
	v_lshlrev_b64 v[4:5], 3, v[4:5]
	v_max_i32_e32 v27, 0, v12
	v_max_i32_e32 v28, 0, v13
	v_max_i32_e32 v24, 0, v14
	v_min_i32_e32 v14, s13, v15
	v_min_i32_e32 v15, s13, v16
	;; [unrolled: 1-line block ×3, first 2 shown]
	v_add_nc_u32_e32 v17, 2, v17
	v_lshlrev_b64 v[6:7], 3, v[6:7]
	v_add_co_u32 v16, vcc_lo, s36, v4
	v_add_f64 v[8:9], v[0:1], -v[8:9]
	v_add_f64 v[10:11], v[2:3], -v[10:11]
	v_min_i32_e32 v0, s12, v19
	v_max_i32_e32 v29, 0, v14
	v_max_i32_e32 v30, 0, v15
	;; [unrolled: 1-line block ×3, first 2 shown]
	v_min_i32_e32 v1, s12, v17
	v_add_co_ci_u32_e64 v17, null, s37, v5, vcc_lo
	v_max_i32_e32 v31, 0, v0
	v_add_co_u32 v0, vcc_lo, v16, v6
	v_mad_u64_u32 v[2:3], null, s30, v24, 0
	v_mad_u64_u32 v[4:5], null, s28, v26, 0
	;; [unrolled: 1-line block ×3, first 2 shown]
	v_max_i32_e32 v65, 0, v1
	v_add_co_ci_u32_e64 v1, null, v17, v7, vcc_lo
	v_mad_u64_u32 v[6:7], null, s28, v27, 0
	v_add_f64 v[12:13], -v[8:9], 1.0
	v_add_f64 v[32:33], v[8:9], 1.0
	v_add_f64 v[34:35], v[10:11], 1.0
	v_add_f64 v[14:15], -v[10:11], 1.0
	v_mad_u64_u32 v[22:23], null, s30, v30, 0
	v_mad_u64_u32 v[36:37], null, s28, v31, 0
	;; [unrolled: 1-line block ×4, first 2 shown]
	v_mov_b32_e32 v3, v19
	v_mov_b32_e32 v19, v23
	v_mad_u64_u32 v[25:26], null, s29, v26, v[5:6]
	v_mov_b32_e32 v5, v37
	v_mad_u64_u32 v[26:27], null, s29, v27, v[7:8]
	v_mad_u64_u32 v[27:28], null, s31, v28, v[17:18]
	;; [unrolled: 1-line block ×3, first 2 shown]
	v_add_f64 v[38:39], v[12:13], 1.0
	v_mad_u64_u32 v[29:30], null, s31, v30, v[19:20]
	v_mad_u64_u32 v[42:43], null, s29, v31, v[5:6]
	v_fma_f64 v[30:31], v[8:9], s[34:35], 0xc0020000
	v_fma_f64 v[43:44], v[10:11], s[34:35], 0xc0020000
	;; [unrolled: 1-line block ×5, first 2 shown]
	v_add_f64 v[40:41], v[14:15], 1.0
	v_fma_f64 v[51:52], v[14:15], s[34:35], 0xc0020000
	v_mov_b32_e32 v3, v24
	v_mov_b32_e32 v17, v27
	;; [unrolled: 1-line block ×5, first 2 shown]
	v_lshlrev_b64 v[59:60], 3, v[2:3]
	v_lshlrev_b64 v[57:58], 3, v[16:17]
	;; [unrolled: 1-line block ×4, first 2 shown]
	v_mov_b32_e32 v23, v29
	v_fma_f64 v[53:54], v[38:39], s[6:7], 0x400e0000
	v_lshlrev_b64 v[18:19], 3, v[18:19]
	v_mov_b32_e32 v37, v42
	s_lshl_b64 s[2:3], s[16:17], 3
	v_lshlrev_b64 v[63:64], 3, v[22:23]
	v_mul_f64 v[2:3], v[8:9], v[30:31]
	v_mul_f64 v[4:5], v[10:11], v[43:44]
	v_fma_f64 v[16:17], v[32:33], v[45:46], 0xc0180000
	v_mul_f64 v[43:44], v[12:13], v[47:48]
	v_fma_f64 v[45:46], v[34:35], v[49:50], 0xc0180000
	v_fma_f64 v[55:56], v[40:41], s[6:7], 0x400e0000
	v_mul_f64 v[47:48], v[14:15], v[51:52]
	v_add_co_u32 v22, vcc_lo, v6, v57
	v_add_co_ci_u32_e64 v23, null, v7, v58, vcc_lo
	v_add_co_u32 v24, vcc_lo, v59, v6
	v_add_co_ci_u32_e64 v25, null, v60, v7, vcc_lo
	v_add_co_u32 v26, vcc_lo, v6, v18
	v_fma_f64 v[49:50], v[38:39], v[53:54], 0xc0180000
	v_add_co_ci_u32_e64 v27, null, v7, v19, vcc_lo
	v_add_co_u32 v28, vcc_lo, v6, v63
	v_fma_f64 v[2:3], v[8:9], v[2:3], 1.0
	v_fma_f64 v[4:5], v[10:11], v[4:5], 1.0
	v_add_co_ci_u32_e64 v29, null, v7, v64, vcc_lo
	v_fma_f64 v[8:9], v[12:13], v[43:44], 1.0
	v_fma_f64 v[10:11], v[34:35], v[45:46], 0x40080000
	v_mad_u64_u32 v[44:45], null, s28, v65, 0
	v_fma_f64 v[51:52], v[40:41], v[55:56], 0xc0180000
	v_fma_f64 v[12:13], v[14:15], v[47:48], 1.0
	v_add_co_u32 v30, vcc_lo, v61, v57
	v_add_co_ci_u32_e64 v31, null, v62, v58, vcc_lo
	v_fma_f64 v[6:7], v[32:33], v[16:17], 0x40080000
	v_add_co_u32 v32, vcc_lo, v61, v59
	v_fma_f64 v[14:15], v[38:39], v[49:50], 0x40080000
	v_mov_b32_e32 v38, v45
	v_lshlrev_b64 v[46:47], 3, v[36:37]
	v_add_co_ci_u32_e64 v33, null, v62, v60, vcc_lo
	v_add_co_u32 v34, vcc_lo, v61, v18
	v_mad_u64_u32 v[42:43], null, s29, v65, v[38:39]
	v_add_co_ci_u32_e64 v35, null, v62, v19, vcc_lo
	v_add_co_u32 v36, vcc_lo, v61, v63
	v_fma_f64 v[16:17], v[40:41], v[51:52], 0x40080000
	v_add_co_ci_u32_e64 v37, null, v62, v64, vcc_lo
	v_mov_b32_e32 v45, v42
	v_add_co_u32 v38, vcc_lo, v57, v46
	v_add_co_ci_u32_e64 v39, null, v58, v47, vcc_lo
	v_add_co_u32 v40, vcc_lo, v59, v46
	v_lshlrev_b64 v[52:53], 3, v[44:45]
	v_add_co_ci_u32_e64 v41, null, v60, v47, vcc_lo
	v_add_co_u32 v42, vcc_lo, v46, v18
	v_add_co_ci_u32_e64 v43, null, v47, v19, vcc_lo
	v_add_co_u32 v44, vcc_lo, v63, v46
	;; [unrolled: 2-line block ×6, first 2 shown]
	v_add_co_ci_u32_e64 v53, null, v53, v64, vcc_lo
	s_lshl_b64 s[6:7], s[18:19], 3
	s_lshl_b64 s[12:13], s[24:25], 3
	;; [unrolled: 1-line block ×3, first 2 shown]
	s_branch .LBB1_13
.LBB1_12:                               ;   in Loop: Header=BB1_13 Depth=1
	v_add_co_u32 v0, vcc_lo, v0, s2
	s_add_i32 s9, s9, 1
	v_add_co_ci_u32_e64 v1, null, s3, v1, vcc_lo
	s_add_u32 s0, s0, s12
	s_addc_u32 s1, s1, s13
	s_cmp_lg_u32 s9, s8
	s_cbranch_scc0 .LBB1_15
.LBB1_13:                               ; =>This Loop Header: Depth=1
                                        ;     Child Loop BB1_14 Depth 2
	v_mov_b32_e32 v19, v1
	v_mov_b32_e32 v18, v0
	s_andn2_b32 vcc_lo, exec_lo, s11
	s_mov_b64 s[16:17], s[0:1]
	s_mov_b32 s18, s10
	s_cbranch_vccnz .LBB1_12
.LBB1_14:                               ;   Parent Loop BB1_13 Depth=1
                                        ; =>  This Inner Loop Header: Depth=2
	v_add_co_u32 v54, vcc_lo, s16, v24
	v_add_co_ci_u32_e64 v55, null, s17, v25, vcc_lo
	v_add_co_u32 v56, vcc_lo, s16, v22
	v_add_co_ci_u32_e64 v57, null, s17, v23, vcc_lo
	;; [unrolled: 2-line block ×12, first 2 shown]
	s_clause 0x3
	global_load_dwordx2 v[54:55], v[54:55], off
	global_load_dwordx2 v[68:69], v[68:69], off
	;; [unrolled: 1-line block ×4, first 2 shown]
	v_add_co_u32 v78, vcc_lo, s16, v36
	v_add_co_ci_u32_e64 v79, null, s17, v37, vcc_lo
	s_add_i32 s18, s18, -1
	s_waitcnt vmcnt(3)
	v_mul_f64 v[54:55], v[2:3], v[54:55]
	s_waitcnt vmcnt(0)
	v_fma_f64 v[54:55], v[6:7], v[56:57], v[54:55]
	v_add_co_u32 v56, vcc_lo, s16, v44
	v_add_co_ci_u32_e64 v57, null, s17, v45, vcc_lo
	s_clause 0x8
	global_load_dwordx2 v[58:59], v[58:59], off
	global_load_dwordx2 v[70:71], v[70:71], off
	global_load_dwordx2 v[78:79], v[78:79], off
	global_load_dwordx2 v[60:61], v[60:61], off
	global_load_dwordx2 v[62:63], v[62:63], off
	global_load_dwordx2 v[72:73], v[72:73], off
	global_load_dwordx2 v[56:57], v[56:57], off
	global_load_dwordx2 v[64:65], v[64:65], off
	global_load_dwordx2 v[66:67], v[66:67], off
	v_fma_f64 v[54:55], v[8:9], v[68:69], v[54:55]
	v_fma_f64 v[54:55], v[14:15], v[76:77], v[54:55]
	v_mul_f64 v[54:55], v[10:11], v[54:55]
	s_waitcnt vmcnt(8)
	v_mul_f64 v[58:59], v[2:3], v[58:59]
	s_waitcnt vmcnt(4)
	;; [unrolled: 2-line block ×3, first 2 shown]
	v_mul_f64 v[66:67], v[2:3], v[66:67]
	v_fma_f64 v[58:59], v[6:7], v[60:61], v[58:59]
	v_add_co_u32 v60, vcc_lo, s16, v52
	v_add_co_ci_u32_e64 v61, null, s17, v53, vcc_lo
	v_add_co_u32 v68, vcc_lo, s16, v46
	v_add_co_ci_u32_e64 v69, null, s17, v47, vcc_lo
	s_clause 0x2
	global_load_dwordx2 v[74:75], v[74:75], off
	global_load_dwordx2 v[60:61], v[60:61], off
	;; [unrolled: 1-line block ×3, first 2 shown]
	v_fma_f64 v[62:63], v[6:7], v[64:65], v[62:63]
	s_add_u32 s16, s16, s14
	s_addc_u32 s17, s17, s15
	s_cmp_lg_u32 s18, 0
	v_fma_f64 v[58:59], v[8:9], v[70:71], v[58:59]
	v_fma_f64 v[62:63], v[8:9], v[72:73], v[62:63]
	;; [unrolled: 1-line block ×6, first 2 shown]
	s_waitcnt vmcnt(0)
	v_fma_f64 v[64:65], v[6:7], v[68:69], v[66:67]
	v_fma_f64 v[64:65], v[8:9], v[74:75], v[64:65]
	;; [unrolled: 1-line block ×4, first 2 shown]
	global_store_dwordx2 v[18:19], v[54:55], off
	v_add_co_u32 v18, vcc_lo, v18, s6
	v_add_co_ci_u32_e64 v19, null, s7, v19, vcc_lo
	s_cbranch_scc1 .LBB1_14
	s_branch .LBB1_12
.LBB1_15:
	s_mov_b32 s0, 0
.LBB1_16:
	s_and_b32 vcc_lo, exec_lo, s0
	s_cbranch_vccz .LBB1_22
; %bb.17:
	s_cmp_lt_i32 s8, 1
	s_cbranch_scc1 .LBB1_22
; %bb.18:
	s_clause 0x1
	s_load_dwordx8 s[12:19], s[4:5], 0x48
	s_load_dwordx8 s[20:27], s[4:5], 0x90
	v_ashrrev_i32_e32 v4, 31, v20
	s_clause 0x1
	s_load_dwordx2 s[0:1], s[4:5], 0x20
	s_load_dwordx2 s[2:3], s[4:5], 0x68
	v_ashrrev_i32_e32 v6, 31, v21
	s_cmp_gt_i32 s10, 0
	s_mov_b32 s9, 0
	s_cselect_b32 s11, -1, 0
	s_waitcnt lgkmcnt(0)
	v_mul_lo_u32 v8, s17, v20
	v_mul_lo_u32 v9, s16, v4
	v_mad_u64_u32 v[0:1], null, s16, v20, 0
	v_mul_lo_u32 v12, s25, v20
	v_mul_lo_u32 v13, s24, v4
	v_mad_u64_u32 v[4:5], null, s24, v20, 0
	;; [unrolled: 3-line block ×4, first 2 shown]
	v_add3_u32 v1, v1, v9, v8
	v_add3_u32 v5, v5, v13, v12
	;; [unrolled: 1-line block ×3, first 2 shown]
	s_lshl_b64 s[4:5], s[12:13], 3
	s_lshl_b64 s[6:7], s[14:15], 3
	v_lshlrev_b64 v[0:1], 3, v[0:1]
	v_add3_u32 v7, v7, v15, v14
	v_lshlrev_b64 v[4:5], 3, v[4:5]
	v_lshlrev_b64 v[2:3], 3, v[2:3]
	v_add_co_u32 v0, vcc_lo, s0, v0
	v_lshlrev_b64 v[6:7], 3, v[6:7]
	v_add_co_ci_u32_e64 v1, null, s1, v1, vcc_lo
	v_add_co_u32 v4, vcc_lo, s2, v4
	v_add_co_ci_u32_e64 v5, null, s3, v5, vcc_lo
	v_add_co_u32 v0, vcc_lo, v0, v2
	;; [unrolled: 2-line block ×3, first 2 shown]
	v_add_co_ci_u32_e64 v3, null, v5, v7, vcc_lo
	s_lshl_b64 s[0:1], s[20:21], 3
	s_lshl_b64 s[2:3], s[22:23], 3
	s_inst_prefetch 0x1
	s_branch .LBB1_20
	.p2align	6
.LBB1_19:                               ;   in Loop: Header=BB1_20 Depth=1
	v_add_co_u32 v2, vcc_lo, v2, s0
	v_add_co_ci_u32_e64 v3, null, s1, v3, vcc_lo
	v_add_co_u32 v0, vcc_lo, v0, s4
	v_add_co_ci_u32_e64 v1, null, s5, v1, vcc_lo
	s_add_i32 s9, s9, 1
	s_cmp_eq_u32 s9, s8
	s_cbranch_scc1 .LBB1_22
.LBB1_20:                               ; =>This Loop Header: Depth=1
                                        ;     Child Loop BB1_21 Depth 2
	v_mov_b32_e32 v5, v1
	v_mov_b32_e32 v7, v3
	v_mov_b32_e32 v4, v0
	v_mov_b32_e32 v6, v2
	s_andn2_b32 vcc_lo, exec_lo, s11
	s_mov_b32 s12, s10
	s_cbranch_vccnz .LBB1_19
.LBB1_21:                               ;   Parent Loop BB1_20 Depth=1
                                        ; =>  This Inner Loop Header: Depth=2
	global_load_dwordx2 v[8:9], v[4:5], off
	v_add_co_u32 v4, vcc_lo, v4, s6
	v_add_co_ci_u32_e64 v5, null, s7, v5, vcc_lo
	s_add_i32 s12, s12, -1
	s_cmp_eq_u32 s12, 0
	s_waitcnt vmcnt(0)
	global_store_dwordx2 v[6:7], v[8:9], off
	v_add_co_u32 v6, vcc_lo, v6, s2
	v_add_co_ci_u32_e64 v7, null, s3, v7, vcc_lo
	s_cbranch_scc0 .LBB1_21
	s_branch .LBB1_19
.LBB1_22:
	s_inst_prefetch 0x2
	s_endpgm
	.section	.rodata,"a",@progbits
	.p2align	6, 0x0
	.amdhsa_kernel _ZN2at6native12_GLOBAL__N_128upsample_bicubic2d_out_frameIddEEviT0_S3_bN5torch10headeronly6detail27GenericPackedTensorAccessorINS6_14TensorAccessorIN3c108ArrayRefIlEEKT_Lm3ENS5_16DefaultPtrTraitsElEENS_6detail16IndexBoundsCheckILm4ElEESD_Lm4ESE_lEENS7_INS8_ISB_SC_Lm3ESE_lEESI_SC_Lm4ESE_lEE
		.amdhsa_group_segment_fixed_size 0
		.amdhsa_private_segment_fixed_size 0
		.amdhsa_kernarg_size 432
		.amdhsa_user_sgpr_count 6
		.amdhsa_user_sgpr_private_segment_buffer 1
		.amdhsa_user_sgpr_dispatch_ptr 0
		.amdhsa_user_sgpr_queue_ptr 0
		.amdhsa_user_sgpr_kernarg_segment_ptr 1
		.amdhsa_user_sgpr_dispatch_id 0
		.amdhsa_user_sgpr_flat_scratch_init 0
		.amdhsa_user_sgpr_private_segment_size 0
		.amdhsa_wavefront_size32 1
		.amdhsa_uses_dynamic_stack 0
		.amdhsa_system_sgpr_private_segment_wavefront_offset 0
		.amdhsa_system_sgpr_workgroup_id_x 1
		.amdhsa_system_sgpr_workgroup_id_y 0
		.amdhsa_system_sgpr_workgroup_id_z 0
		.amdhsa_system_sgpr_workgroup_info 0
		.amdhsa_system_vgpr_workitem_id 0
		.amdhsa_next_free_vgpr 80
		.amdhsa_next_free_sgpr 38
		.amdhsa_reserve_vcc 1
		.amdhsa_reserve_flat_scratch 0
		.amdhsa_float_round_mode_32 0
		.amdhsa_float_round_mode_16_64 0
		.amdhsa_float_denorm_mode_32 3
		.amdhsa_float_denorm_mode_16_64 3
		.amdhsa_dx10_clamp 1
		.amdhsa_ieee_mode 1
		.amdhsa_fp16_overflow 0
		.amdhsa_workgroup_processor_mode 1
		.amdhsa_memory_ordered 1
		.amdhsa_forward_progress 1
		.amdhsa_shared_vgpr_count 0
		.amdhsa_exception_fp_ieee_invalid_op 0
		.amdhsa_exception_fp_denorm_src 0
		.amdhsa_exception_fp_ieee_div_zero 0
		.amdhsa_exception_fp_ieee_overflow 0
		.amdhsa_exception_fp_ieee_underflow 0
		.amdhsa_exception_fp_ieee_inexact 0
		.amdhsa_exception_int_div_zero 0
	.end_amdhsa_kernel
	.section	.text._ZN2at6native12_GLOBAL__N_128upsample_bicubic2d_out_frameIddEEviT0_S3_bN5torch10headeronly6detail27GenericPackedTensorAccessorINS6_14TensorAccessorIN3c108ArrayRefIlEEKT_Lm3ENS5_16DefaultPtrTraitsElEENS_6detail16IndexBoundsCheckILm4ElEESD_Lm4ESE_lEENS7_INS8_ISB_SC_Lm3ESE_lEESI_SC_Lm4ESE_lEE,"axG",@progbits,_ZN2at6native12_GLOBAL__N_128upsample_bicubic2d_out_frameIddEEviT0_S3_bN5torch10headeronly6detail27GenericPackedTensorAccessorINS6_14TensorAccessorIN3c108ArrayRefIlEEKT_Lm3ENS5_16DefaultPtrTraitsElEENS_6detail16IndexBoundsCheckILm4ElEESD_Lm4ESE_lEENS7_INS8_ISB_SC_Lm3ESE_lEESI_SC_Lm4ESE_lEE,comdat
.Lfunc_end1:
	.size	_ZN2at6native12_GLOBAL__N_128upsample_bicubic2d_out_frameIddEEviT0_S3_bN5torch10headeronly6detail27GenericPackedTensorAccessorINS6_14TensorAccessorIN3c108ArrayRefIlEEKT_Lm3ENS5_16DefaultPtrTraitsElEENS_6detail16IndexBoundsCheckILm4ElEESD_Lm4ESE_lEENS7_INS8_ISB_SC_Lm3ESE_lEESI_SC_Lm4ESE_lEE, .Lfunc_end1-_ZN2at6native12_GLOBAL__N_128upsample_bicubic2d_out_frameIddEEviT0_S3_bN5torch10headeronly6detail27GenericPackedTensorAccessorINS6_14TensorAccessorIN3c108ArrayRefIlEEKT_Lm3ENS5_16DefaultPtrTraitsElEENS_6detail16IndexBoundsCheckILm4ElEESD_Lm4ESE_lEENS7_INS8_ISB_SC_Lm3ESE_lEESI_SC_Lm4ESE_lEE
                                        ; -- End function
	.set _ZN2at6native12_GLOBAL__N_128upsample_bicubic2d_out_frameIddEEviT0_S3_bN5torch10headeronly6detail27GenericPackedTensorAccessorINS6_14TensorAccessorIN3c108ArrayRefIlEEKT_Lm3ENS5_16DefaultPtrTraitsElEENS_6detail16IndexBoundsCheckILm4ElEESD_Lm4ESE_lEENS7_INS8_ISB_SC_Lm3ESE_lEESI_SC_Lm4ESE_lEE.num_vgpr, 80
	.set _ZN2at6native12_GLOBAL__N_128upsample_bicubic2d_out_frameIddEEviT0_S3_bN5torch10headeronly6detail27GenericPackedTensorAccessorINS6_14TensorAccessorIN3c108ArrayRefIlEEKT_Lm3ENS5_16DefaultPtrTraitsElEENS_6detail16IndexBoundsCheckILm4ElEESD_Lm4ESE_lEENS7_INS8_ISB_SC_Lm3ESE_lEESI_SC_Lm4ESE_lEE.num_agpr, 0
	.set _ZN2at6native12_GLOBAL__N_128upsample_bicubic2d_out_frameIddEEviT0_S3_bN5torch10headeronly6detail27GenericPackedTensorAccessorINS6_14TensorAccessorIN3c108ArrayRefIlEEKT_Lm3ENS5_16DefaultPtrTraitsElEENS_6detail16IndexBoundsCheckILm4ElEESD_Lm4ESE_lEENS7_INS8_ISB_SC_Lm3ESE_lEESI_SC_Lm4ESE_lEE.numbered_sgpr, 38
	.set _ZN2at6native12_GLOBAL__N_128upsample_bicubic2d_out_frameIddEEviT0_S3_bN5torch10headeronly6detail27GenericPackedTensorAccessorINS6_14TensorAccessorIN3c108ArrayRefIlEEKT_Lm3ENS5_16DefaultPtrTraitsElEENS_6detail16IndexBoundsCheckILm4ElEESD_Lm4ESE_lEENS7_INS8_ISB_SC_Lm3ESE_lEESI_SC_Lm4ESE_lEE.num_named_barrier, 0
	.set _ZN2at6native12_GLOBAL__N_128upsample_bicubic2d_out_frameIddEEviT0_S3_bN5torch10headeronly6detail27GenericPackedTensorAccessorINS6_14TensorAccessorIN3c108ArrayRefIlEEKT_Lm3ENS5_16DefaultPtrTraitsElEENS_6detail16IndexBoundsCheckILm4ElEESD_Lm4ESE_lEENS7_INS8_ISB_SC_Lm3ESE_lEESI_SC_Lm4ESE_lEE.private_seg_size, 0
	.set _ZN2at6native12_GLOBAL__N_128upsample_bicubic2d_out_frameIddEEviT0_S3_bN5torch10headeronly6detail27GenericPackedTensorAccessorINS6_14TensorAccessorIN3c108ArrayRefIlEEKT_Lm3ENS5_16DefaultPtrTraitsElEENS_6detail16IndexBoundsCheckILm4ElEESD_Lm4ESE_lEENS7_INS8_ISB_SC_Lm3ESE_lEESI_SC_Lm4ESE_lEE.uses_vcc, 1
	.set _ZN2at6native12_GLOBAL__N_128upsample_bicubic2d_out_frameIddEEviT0_S3_bN5torch10headeronly6detail27GenericPackedTensorAccessorINS6_14TensorAccessorIN3c108ArrayRefIlEEKT_Lm3ENS5_16DefaultPtrTraitsElEENS_6detail16IndexBoundsCheckILm4ElEESD_Lm4ESE_lEENS7_INS8_ISB_SC_Lm3ESE_lEESI_SC_Lm4ESE_lEE.uses_flat_scratch, 0
	.set _ZN2at6native12_GLOBAL__N_128upsample_bicubic2d_out_frameIddEEviT0_S3_bN5torch10headeronly6detail27GenericPackedTensorAccessorINS6_14TensorAccessorIN3c108ArrayRefIlEEKT_Lm3ENS5_16DefaultPtrTraitsElEENS_6detail16IndexBoundsCheckILm4ElEESD_Lm4ESE_lEENS7_INS8_ISB_SC_Lm3ESE_lEESI_SC_Lm4ESE_lEE.has_dyn_sized_stack, 0
	.set _ZN2at6native12_GLOBAL__N_128upsample_bicubic2d_out_frameIddEEviT0_S3_bN5torch10headeronly6detail27GenericPackedTensorAccessorINS6_14TensorAccessorIN3c108ArrayRefIlEEKT_Lm3ENS5_16DefaultPtrTraitsElEENS_6detail16IndexBoundsCheckILm4ElEESD_Lm4ESE_lEENS7_INS8_ISB_SC_Lm3ESE_lEESI_SC_Lm4ESE_lEE.has_recursion, 0
	.set _ZN2at6native12_GLOBAL__N_128upsample_bicubic2d_out_frameIddEEviT0_S3_bN5torch10headeronly6detail27GenericPackedTensorAccessorINS6_14TensorAccessorIN3c108ArrayRefIlEEKT_Lm3ENS5_16DefaultPtrTraitsElEENS_6detail16IndexBoundsCheckILm4ElEESD_Lm4ESE_lEENS7_INS8_ISB_SC_Lm3ESE_lEESI_SC_Lm4ESE_lEE.has_indirect_call, 0
	.section	.AMDGPU.csdata,"",@progbits
; Kernel info:
; codeLenInByte = 2772
; TotalNumSgprs: 40
; NumVgprs: 80
; ScratchSize: 0
; MemoryBound: 0
; FloatMode: 240
; IeeeMode: 1
; LDSByteSize: 0 bytes/workgroup (compile time only)
; SGPRBlocks: 0
; VGPRBlocks: 9
; NumSGPRsForWavesPerEU: 40
; NumVGPRsForWavesPerEU: 80
; Occupancy: 12
; WaveLimiterHint : 1
; COMPUTE_PGM_RSRC2:SCRATCH_EN: 0
; COMPUTE_PGM_RSRC2:USER_SGPR: 6
; COMPUTE_PGM_RSRC2:TRAP_HANDLER: 0
; COMPUTE_PGM_RSRC2:TGID_X_EN: 1
; COMPUTE_PGM_RSRC2:TGID_Y_EN: 0
; COMPUTE_PGM_RSRC2:TGID_Z_EN: 0
; COMPUTE_PGM_RSRC2:TIDIG_COMP_CNT: 0
	.section	.text._ZN2at6native12_GLOBAL__N_137upsample_bicubic2d_out_frame_parallelIffEEviT0_S3_bN5torch10headeronly6detail27GenericPackedTensorAccessorINS6_14TensorAccessorIN3c108ArrayRefIlEEKT_Lm3ENS5_16DefaultPtrTraitsElEENS_6detail16IndexBoundsCheckILm4ElEESD_Lm4ESE_lEENS7_INS8_ISB_SC_Lm3ESE_lEESI_SC_Lm4ESE_lEE,"axG",@progbits,_ZN2at6native12_GLOBAL__N_137upsample_bicubic2d_out_frame_parallelIffEEviT0_S3_bN5torch10headeronly6detail27GenericPackedTensorAccessorINS6_14TensorAccessorIN3c108ArrayRefIlEEKT_Lm3ENS5_16DefaultPtrTraitsElEENS_6detail16IndexBoundsCheckILm4ElEESD_Lm4ESE_lEENS7_INS8_ISB_SC_Lm3ESE_lEESI_SC_Lm4ESE_lEE,comdat
	.globl	_ZN2at6native12_GLOBAL__N_137upsample_bicubic2d_out_frame_parallelIffEEviT0_S3_bN5torch10headeronly6detail27GenericPackedTensorAccessorINS6_14TensorAccessorIN3c108ArrayRefIlEEKT_Lm3ENS5_16DefaultPtrTraitsElEENS_6detail16IndexBoundsCheckILm4ElEESD_Lm4ESE_lEENS7_INS8_ISB_SC_Lm3ESE_lEESI_SC_Lm4ESE_lEE ; -- Begin function _ZN2at6native12_GLOBAL__N_137upsample_bicubic2d_out_frame_parallelIffEEviT0_S3_bN5torch10headeronly6detail27GenericPackedTensorAccessorINS6_14TensorAccessorIN3c108ArrayRefIlEEKT_Lm3ENS5_16DefaultPtrTraitsElEENS_6detail16IndexBoundsCheckILm4ElEESD_Lm4ESE_lEENS7_INS8_ISB_SC_Lm3ESE_lEESI_SC_Lm4ESE_lEE
	.p2align	8
	.type	_ZN2at6native12_GLOBAL__N_137upsample_bicubic2d_out_frame_parallelIffEEviT0_S3_bN5torch10headeronly6detail27GenericPackedTensorAccessorINS6_14TensorAccessorIN3c108ArrayRefIlEEKT_Lm3ENS5_16DefaultPtrTraitsElEENS_6detail16IndexBoundsCheckILm4ElEESD_Lm4ESE_lEENS7_INS8_ISB_SC_Lm3ESE_lEESI_SC_Lm4ESE_lEE,@function
_ZN2at6native12_GLOBAL__N_137upsample_bicubic2d_out_frame_parallelIffEEviT0_S3_bN5torch10headeronly6detail27GenericPackedTensorAccessorINS6_14TensorAccessorIN3c108ArrayRefIlEEKT_Lm3ENS5_16DefaultPtrTraitsElEENS_6detail16IndexBoundsCheckILm4ElEESD_Lm4ESE_lEENS7_INS8_ISB_SC_Lm3ESE_lEESI_SC_Lm4ESE_lEE: ; @_ZN2at6native12_GLOBAL__N_137upsample_bicubic2d_out_frame_parallelIffEEviT0_S3_bN5torch10headeronly6detail27GenericPackedTensorAccessorINS6_14TensorAccessorIN3c108ArrayRefIlEEKT_Lm3ENS5_16DefaultPtrTraitsElEENS_6detail16IndexBoundsCheckILm4ElEESD_Lm4ESE_lEENS7_INS8_ISB_SC_Lm3ESE_lEESI_SC_Lm4ESE_lEE
; %bb.0:
	s_clause 0x1
	s_load_dword s8, s[4:5], 0xac
	s_load_dwordx4 s[0:3], s[4:5], 0x0
	s_add_u32 s34, s4, 0xa0
	s_addc_u32 s35, s5, 0
	s_waitcnt lgkmcnt(0)
	s_and_b32 s8, s8, 0xffff
	v_mad_u64_u32 v[0:1], null, s6, s8, v[0:1]
	v_cmp_gt_i32_e32 vcc_lo, s0, v0
	s_and_saveexec_b32 s0, vcc_lo
	s_cbranch_execz .LBB2_10
; %bb.1:
	s_load_dwordx4 s[8:11], s[4:5], 0x70
	v_sub_nc_u32_e32 v3, 0, v0
	s_waitcnt lgkmcnt(0)
	s_load_dword s9, s[4:5], 0x18
	v_max_i32_e32 v3, v0, v3
	s_abs_i32 s0, s10
	v_cvt_f32_u32_e32 v1, s0
	s_sub_i32 s6, 0, s0
	v_rcp_iflag_f32_e32 v1, v1
	v_mul_f32_e32 v1, 0x4f7ffffe, v1
	v_cvt_u32_f32_e32 v1, v1
	v_mul_lo_u32 v2, s6, v1
	s_clause 0x1
	s_load_dwordx4 s[36:39], s[4:5], 0x20
	s_load_dword s6, s[4:5], 0x30
	v_mul_hi_u32 v2, v1, v2
	v_add_nc_u32_e32 v1, v1, v2
	s_waitcnt lgkmcnt(0)
	s_cmp_lg_u32 s38, s8
	v_mul_hi_u32 v1, v3, v1
	s_mul_i32 s33, s36, s9
	v_mul_lo_u32 v2, v1, s0
	v_sub_nc_u32_e32 v2, v3, v2
	v_add_nc_u32_e32 v3, 1, v1
	v_subrev_nc_u32_e32 v4, s0, v2
	v_cmp_le_u32_e32 vcc_lo, s0, v2
	v_cndmask_b32_e32 v1, v1, v3, vcc_lo
	v_cndmask_b32_e32 v2, v2, v4, vcc_lo
	v_xor_b32_e32 v3, s10, v0
	v_add_nc_u32_e32 v4, 1, v1
	v_cmp_le_u32_e32 vcc_lo, s0, v2
	v_ashrrev_i32_e32 v3, 31, v3
	s_cselect_b32 s0, -1, 0
	s_cmp_lg_u32 s6, s10
	v_cndmask_b32_e32 v1, v1, v4, vcc_lo
	s_cselect_b32 s8, -1, 0
	s_or_b32 s0, s8, s0
	s_cmp_lt_i32 s7, s33
	v_xor_b32_e32 v1, v1, v3
	s_cselect_b32 s15, -1, 0
	s_and_b32 vcc_lo, exec_lo, s0
	v_cndmask_b32_e64 v2, 0, 1, s15
	s_mov_b32 s8, -1
	v_sub_nc_u32_e32 v20, v1, v3
	v_cmp_ne_u32_e64 s0, 1, v2
	v_mul_lo_u32 v1, v20, s10
	v_sub_nc_u32_e32 v21, v0, v1
	s_cbranch_vccz .LBB2_6
; %bb.2:
	s_and_b32 vcc_lo, exec_lo, s0
	s_cbranch_vccnz .LBB2_5
; %bb.3:
	v_cvt_f32_i32_e32 v0, v20
	v_cvt_f32_i32_e32 v1, v21
	s_bitcmp1_b32 s3, 0
	s_clause 0x1
	s_load_dwordx8 s[16:23], s[4:5], 0x38
	s_load_dwordx2 s[42:43], s[4:5], 0x58
	s_cselect_b32 vcc_lo, -1, 0
	v_add_f32_e32 v2, 0.5, v0
	v_add_f32_e32 v3, 0.5, v1
	v_mul_f32_e32 v0, s1, v0
	v_mul_f32_e32 v1, s2, v1
	s_add_i32 s6, s6, -1
	v_fma_f32 v2, s1, v2, -0.5
	v_fma_f32 v3, s2, v3, -0.5
	s_mov_b32 s1, 0x3fa00000
	s_mov_b32 s0, 0xbf400000
	s_load_dwordx8 s[24:31], s[4:5], 0x80
	v_cndmask_b32_e32 v14, v2, v0, vcc_lo
	v_cndmask_b32_e32 v0, v3, v1, vcc_lo
	s_add_i32 s2, s38, -1
	s_load_dwordx2 s[40:41], s[4:5], 0x10
	v_floor_f32_e32 v2, v14
	v_floor_f32_e32 v1, v0
	v_cvt_i32_f32_e32 v15, v2
	v_cvt_i32_f32_e32 v1, v1
	v_add_nc_u32_e32 v2, -1, v1
	v_cvt_f32_i32_e32 v3, v1
	v_min_i32_e32 v4, s6, v1
	v_add_nc_u32_e32 v5, 1, v1
	v_add_nc_u32_e32 v1, 2, v1
	v_min_i32_e32 v2, s6, v2
	v_sub_f32_e32 v16, v0, v3
	v_max_i32_e32 v10, 0, v4
	v_min_i32_e32 v0, s6, v5
	v_min_i32_e32 v1, s6, v1
	v_max_i32_e32 v12, 0, v2
	v_add_f32_e32 v18, 1.0, v16
	s_waitcnt lgkmcnt(0)
	v_mad_u64_u32 v[4:5], null, s22, v10, 0
	v_max_i32_e32 v13, 0, v0
	v_mad_u64_u32 v[2:3], null, s22, v12, 0
	v_max_i32_e32 v17, 0, v1
	v_fmaak_f32 v19, s0, v18, 0x40700000
	v_mad_u64_u32 v[6:7], null, s22, v13, 0
	v_mov_b32_e32 v0, v5
	v_mad_u64_u32 v[8:9], null, s22, v17, 0
	v_mov_b32_e32 v1, v3
	v_cvt_f32_i32_e32 v5, v15
	v_mul_lo_u32 v30, s29, v20
	v_mul_lo_u32 v32, s31, v21
	s_abs_i32 s22, s36
	v_mad_u64_u32 v[10:11], null, s23, v10, v[0:1]
	v_mov_b32_e32 v0, v7
	v_mov_b32_e32 v3, v9
	v_mad_u64_u32 v[11:12], null, s23, v12, v[1:2]
	s_mov_b32 s29, s7
	v_mad_u64_u32 v[0:1], null, s23, v13, v[0:1]
	v_mad_u64_u32 v[12:13], null, s23, v17, v[3:4]
	v_sub_f32_e32 v13, v14, v5
	v_sub_f32_e32 v14, 1.0, v16
	v_mov_b32_e32 v5, v10
	v_mov_b32_e32 v3, v11
	;; [unrolled: 1-line block ×3, first 2 shown]
	v_fmaak_f32 v0, s1, v16, 0xc0100000
	v_add_f32_e32 v10, 1.0, v14
	v_fmaak_f32 v11, s1, v14, 0xc0100000
	v_mov_b32_e32 v9, v12
	v_sub_f32_e32 v28, 1.0, v13
	v_mul_f32_e32 v0, v16, v0
	v_fmaak_f32 v12, s0, v10, 0x40700000
	v_mul_f32_e32 v11, v14, v11
	v_add_f32_e32 v26, 1.0, v13
	v_fmaak_f32 v17, v18, v19, 0xc0c00000
	v_fma_f32 v23, v16, v0, 1.0
	v_fmaak_f32 v0, v10, v12, 0xc0c00000
	v_fma_f32 v24, v14, v11, 1.0
	v_add_f32_e32 v11, 1.0, v28
	v_fmaak_f32 v12, s0, v26, 0x40700000
	v_fmaak_f32 v22, v18, v17, 0x40400000
	;; [unrolled: 1-line block ×3, first 2 shown]
	v_ashrrev_i32_e32 v16, 31, v20
	v_fmaak_f32 v10, s0, v11, 0x40700000
	v_fmaak_f32 v12, v26, v12, 0xc0c00000
	v_ashrrev_i32_e32 v18, 31, v21
	v_fmaak_f32 v14, s1, v13, 0xc0100000
	v_add_nc_u32_e32 v1, -1, v15
	v_fmaak_f32 v10, v11, v10, 0xc0c00000
	v_fmaak_f32 v26, v26, v12, 0x40400000
	v_add_nc_u32_e32 v12, 2, v15
	v_mul_lo_u32 v31, s28, v16
	v_mad_u64_u32 v[16:17], null, s28, v20, 0
	v_fmaak_f32 v29, v11, v10, 0x40400000
	v_add_nc_u32_e32 v10, 1, v15
	v_mul_lo_u32 v33, s30, v18
	v_mad_u64_u32 v[18:19], null, s30, v21, 0
	v_mul_f32_e32 v14, v13, v14
	v_fmaak_f32 v0, s1, v28, 0xc0100000
	v_min_i32_e32 v1, s2, v1
	v_min_i32_e32 v10, s2, v10
	;; [unrolled: 1-line block ×4, first 2 shown]
	v_fma_f32 v27, v13, v14, 1.0
	v_cvt_f32_u32_e32 v13, s22
	v_mul_f32_e32 v0, v28, v0
	v_add3_u32 v17, v17, v31, v30
	v_max_i32_e32 v30, 0, v1
	v_add3_u32 v19, v19, v33, v32
	v_max_i32_e32 v33, 0, v10
	v_max_i32_e32 v32, 0, v11
	;; [unrolled: 1-line block ×3, first 2 shown]
	v_rcp_iflag_f32_e32 v34, v13
	v_fma_f32 v28, v28, v0, 1.0
	v_mad_u64_u32 v[0:1], null, s20, v30, 0
	v_mad_u64_u32 v[12:13], null, s20, v33, 0
	;; [unrolled: 1-line block ×5, first 2 shown]
	v_mov_b32_e32 v1, v13
	v_mul_f32_e32 v34, 0x4f7ffffe, v34
	v_mad_u64_u32 v[31:32], null, s21, v32, v[11:12]
	v_mov_b32_e32 v11, v15
	v_mad_u64_u32 v[32:33], null, s21, v33, v[1:2]
	s_load_dword s20, s[34:35], 0x8
	v_cvt_u32_f32_e32 v13, v34
	v_mad_u64_u32 v[33:34], null, s21, v35, v[11:12]
	v_mov_b32_e32 v1, v30
	v_mov_b32_e32 v11, v31
	v_readfirstlane_b32 s0, v13
	v_mov_b32_e32 v13, v32
	s_sub_i32 s1, 0, s22
	v_lshlrev_b64 v[0:1], 2, v[0:1]
	v_mov_b32_e32 v15, v33
	s_mul_i32 s1, s1, s0
	v_lshlrev_b64 v[2:3], 2, v[2:3]
	v_lshlrev_b64 v[4:5], 2, v[4:5]
	;; [unrolled: 1-line block ×9, first 2 shown]
	s_mul_hi_u32 s1, s0, s1
	s_ashr_i32 s21, s36, 31
	s_add_i32 s23, s0, s1
	s_sub_i32 s28, 0, s36
.LBB2_4:                                ; =>This Inner Loop Header: Depth=1
	s_abs_i32 s0, s29
	s_ashr_i32 s1, s29, 31
	s_mul_hi_u32 s2, s0, s23
	s_xor_b32 s1, s1, s21
	s_mul_i32 s3, s2, s22
	s_add_i32 s6, s2, 1
	s_sub_i32 s0, s0, s3
	s_sub_i32 s3, s0, s22
	s_cmp_ge_u32 s0, s22
	s_cselect_b32 s2, s6, s2
	s_cselect_b32 s0, s3, s0
	s_add_i32 s3, s2, 1
	s_cmp_ge_u32 s0, s22
	s_cselect_b32 s0, s3, s2
	s_xor_b32 s0, s0, s1
	s_sub_i32 s31, s0, s1
	s_ashr_i32 s37, s31, 31
	s_mul_i32 s1, s28, s31
	s_mul_hi_u32 s2, s16, s31
	s_mul_i32 s6, s16, s37
	s_mul_i32 s3, s17, s31
	s_add_i32 s30, s29, s1
	s_add_i32 s1, s2, s6
	s_mul_i32 s0, s16, s31
	s_add_i32 s1, s1, s3
	s_mul_hi_u32 s6, s18, s30
	s_lshl_b64 s[0:1], s[0:1], 2
	s_mul_i32 s8, s19, s30
	s_add_u32 s9, s40, s0
	s_addc_u32 s10, s41, s1
	s_ashr_i32 s38, s30, 31
	s_mul_i32 s2, s18, s30
	s_mul_i32 s0, s18, s38
	s_add_i32 s0, s6, s0
	s_add_i32 s3, s0, s8
	s_lshl_b64 s[0:1], s[2:3], 2
	s_add_u32 s2, s9, s0
	s_addc_u32 s3, s10, s1
	v_add_co_u32 v37, vcc_lo, s2, v10
	v_add_co_u32 v31, s0, s2, v12
	v_add_co_u32 v51, s1, s2, v14
	;; [unrolled: 1-line block ×3, first 2 shown]
	v_add_co_ci_u32_e64 v35, null, s3, v1, s2
	v_add_co_ci_u32_e64 v41, null, s3, v11, vcc_lo
	v_add_co_u32 v30, vcc_lo, v33, v4
	v_add_co_u32 v42, s8, v31, v2
	v_add_co_u32 v44, s9, v31, v4
	;; [unrolled: 1-line block ×4, first 2 shown]
	v_add_co_ci_u32_e64 v31, null, v35, v5, vcc_lo
	v_add_co_u32 v53, s14, v33, v2
	v_add_co_ci_u32_e64 v49, null, s3, v13, s0
	v_add_co_u32 v32, s0, v33, v6
	global_load_dword v59, v[30:31], off
	v_add_co_ci_u32_e64 v58, null, s3, v15, s1
	v_add_co_u32 v34, s1, v33, v8
	v_add_co_ci_u32_e64 v54, null, v35, v3, s14
	v_add_co_u32 v36, s2, v37, v4
	v_add_co_ci_u32_e64 v33, null, v35, v7, s0
	v_add_co_ci_u32_e64 v35, null, v35, v9, s1
	v_add_co_u32 v55, vcc_lo, v37, v2
	v_add_co_u32 v38, s3, v37, v6
	v_add_co_u32 v40, s6, v37, v8
	v_add_co_ci_u32_e64 v37, null, v41, v5, s2
	v_add_co_ci_u32_e64 v56, null, v41, v3, vcc_lo
	s_clause 0x4
	global_load_dword v54, v[53:54], off
	global_load_dword v32, v[32:33], off
	;; [unrolled: 1-line block ×5, first 2 shown]
	v_add_co_u32 v50, s12, v51, v4
	v_add_co_ci_u32_e64 v45, null, v49, v5, s9
	v_add_co_ci_u32_e64 v43, null, v49, v3, s8
	v_add_co_u32 v52, s13, v51, v6
	v_add_co_u32 v57, vcc_lo, v51, v8
	v_add_co_u32 v30, s0, v51, v2
	v_add_co_ci_u32_e64 v51, null, v58, v5, s12
	v_add_co_ci_u32_e64 v39, null, v41, v7, s3
	;; [unrolled: 1-line block ×6, first 2 shown]
	s_clause 0x7
	global_load_dword v36, v[44:45], off
	global_load_dword v37, v[42:43], off
	;; [unrolled: 1-line block ×8, first 2 shown]
	v_add_co_ci_u32_e64 v53, null, v58, v7, s13
	v_add_co_ci_u32_e64 v58, null, v58, v9, vcc_lo
	s_clause 0x1
	global_load_dword v40, v[52:53], off
	global_load_dword v41, v[57:58], off
	s_mul_hi_u32 s1, s24, s31
	s_mul_i32 s6, s24, s37
	s_mul_i32 s3, s25, s31
	s_add_i32 s1, s1, s6
	s_mul_i32 s0, s24, s31
	s_add_i32 s1, s1, s3
	s_mul_hi_u32 s8, s26, s30
	s_lshl_b64 s[0:1], s[0:1], 2
	s_mul_i32 s10, s26, s38
	s_add_u32 s6, s42, s0
	s_mul_i32 s9, s27, s30
	s_addc_u32 s11, s43, s1
	s_add_i32 s0, s8, s10
	s_mul_i32 s2, s26, s30
	s_add_i32 s3, s0, s9
	s_lshl_b64 s[0:1], s[2:3], 2
	s_add_u32 s0, s6, s0
	s_addc_u32 s1, s11, s1
	s_waitcnt lgkmcnt(0)
	s_add_i32 s29, s29, s20
	s_cmp_lt_i32 s29, s33
	s_waitcnt vmcnt(15)
	v_mul_f32_e32 v44, v23, v59
	s_waitcnt vmcnt(14)
	v_fmac_f32_e32 v44, v22, v54
	s_waitcnt vmcnt(11)
	v_mul_f32_e32 v34, v23, v34
	v_fmac_f32_e32 v44, v24, v32
	s_waitcnt vmcnt(10)
	v_fmac_f32_e32 v34, v22, v35
	v_fmac_f32_e32 v44, v25, v33
	v_mul_f32_e32 v33, v26, v44
	s_waitcnt vmcnt(9)
	v_mul_f32_e32 v36, v23, v36
	s_waitcnt vmcnt(7)
	;; [unrolled: 2-line block ×3, first 2 shown]
	v_fmac_f32_e32 v34, v24, v38
	v_fmac_f32_e32 v36, v22, v37
	s_waitcnt vmcnt(3)
	v_fmac_f32_e32 v32, v22, v30
	s_waitcnt vmcnt(2)
	v_fmac_f32_e32 v34, v25, v31
	v_add_co_u32 v30, vcc_lo, s0, v16
	v_fmac_f32_e32 v36, v24, v39
	v_add_co_ci_u32_e64 v31, null, s1, v17, vcc_lo
	s_waitcnt vmcnt(1)
	v_fmac_f32_e32 v32, v24, v40
	v_fmac_f32_e32 v33, v27, v34
	;; [unrolled: 1-line block ×3, first 2 shown]
	v_add_co_u32 v30, vcc_lo, v30, v18
	s_waitcnt vmcnt(0)
	v_fmac_f32_e32 v32, v25, v41
	v_add_co_ci_u32_e64 v31, null, v31, v19, vcc_lo
	v_fmac_f32_e32 v33, v28, v36
	v_fmac_f32_e32 v33, v29, v32
	global_store_dword v[30:31], v33, off
	s_cbranch_scc1 .LBB2_4
.LBB2_5:
	s_mov_b32 s8, 0
.LBB2_6:
	s_andn2_b32 vcc_lo, exec_lo, s8
	s_cbranch_vccnz .LBB2_10
; %bb.7:
	s_andn2_b32 vcc_lo, exec_lo, s15
	s_cbranch_vccnz .LBB2_10
; %bb.8:
	s_abs_i32 s6, s36
	s_load_dwordx8 s[8:15], s[4:5], 0x38
	v_cvt_f32_u32_e32 v0, s6
	s_load_dwordx8 s[16:23], s[4:5], 0x80
	v_ashrrev_i32_e32 v4, 31, v20
	v_ashrrev_i32_e32 v6, 31, v21
	s_load_dwordx2 s[0:1], s[4:5], 0x10
	v_rcp_iflag_f32_e32 v0, v0
	s_load_dwordx2 s[2:3], s[4:5], 0x58
	s_load_dword s4, s[34:35], 0x8
	s_sub_i32 s5, 0, s6
	v_mul_f32_e32 v7, 0x4f7ffffe, v0
	s_waitcnt lgkmcnt(0)
	v_mul_lo_u32 v8, s13, v20
	v_mul_lo_u32 v9, s12, v4
	v_mad_u64_u32 v[0:1], null, s12, v20, 0
	v_mul_lo_u32 v10, s15, v21
	v_mul_lo_u32 v11, s14, v6
	v_mad_u64_u32 v[2:3], null, s14, v21, 0
	;; [unrolled: 3-line block ×3, first 2 shown]
	v_mul_lo_u32 v14, s23, v21
	v_mul_lo_u32 v15, s22, v6
	v_cvt_u32_f32_e32 v16, v7
	v_mad_u64_u32 v[6:7], null, s22, v21, 0
	v_add3_u32 v1, v1, v9, v8
	v_add3_u32 v3, v3, v11, v10
	v_readfirstlane_b32 s12, v16
	v_add3_u32 v5, v5, v13, v12
	v_lshlrev_b64 v[0:1], 2, v[0:1]
	v_add3_u32 v7, v7, v15, v14
	s_mul_i32 s5, s5, s12
	v_lshlrev_b64 v[2:3], 2, v[2:3]
	v_lshlrev_b64 v[4:5], 2, v[4:5]
	s_mul_hi_u32 s13, s12, s5
	v_lshlrev_b64 v[6:7], 2, v[6:7]
	s_ashr_i32 s5, s36, 31
	s_add_i32 s12, s12, s13
	s_sub_i32 s13, 0, s36
.LBB2_9:                                ; =>This Inner Loop Header: Depth=1
	s_abs_i32 s14, s7
	s_ashr_i32 s15, s7, 31
	s_mul_hi_u32 s20, s14, s12
	s_xor_b32 s15, s15, s5
	s_mul_i32 s21, s20, s6
	s_add_i32 s22, s20, 1
	s_sub_i32 s14, s14, s21
	s_sub_i32 s21, s14, s6
	s_cmp_ge_u32 s14, s6
	s_cselect_b32 s20, s22, s20
	s_cselect_b32 s14, s21, s14
	s_add_i32 s21, s20, 1
	s_cmp_ge_u32 s14, s6
	s_cselect_b32 s14, s21, s20
	s_xor_b32 s14, s14, s15
	s_sub_i32 s22, s14, s15
	s_ashr_i32 s23, s22, 31
	s_mul_i32 s15, s13, s22
	s_mul_hi_u32 s20, s8, s22
	s_mul_i32 s24, s8, s23
	s_mul_i32 s21, s9, s22
	s_add_i32 s25, s7, s15
	s_add_i32 s15, s20, s24
	s_mul_i32 s14, s8, s22
	s_add_i32 s15, s15, s21
	s_mul_hi_u32 s24, s10, s25
	s_lshl_b64 s[14:15], s[14:15], 2
	s_mul_i32 s26, s11, s25
	s_add_u32 s27, s0, s14
	s_addc_u32 s28, s1, s15
	s_ashr_i32 s29, s25, 31
	s_mul_i32 s20, s10, s25
	s_mul_i32 s14, s10, s29
	s_add_i32 s14, s24, s14
	s_mul_i32 s24, s19, s25
	s_add_i32 s21, s14, s26
	s_lshl_b64 s[14:15], s[20:21], 2
	s_mul_i32 s21, s17, s22
	s_add_u32 s14, s27, s14
	s_addc_u32 s15, s28, s15
	v_add_co_u32 v8, vcc_lo, s14, v0
	v_add_co_ci_u32_e64 v9, null, s15, v1, vcc_lo
	s_mul_hi_u32 s15, s16, s22
	v_add_co_u32 v8, vcc_lo, v8, v2
	v_add_co_ci_u32_e64 v9, null, v9, v3, vcc_lo
	s_mul_i32 s14, s16, s22
	s_mul_i32 s22, s16, s23
	s_mul_hi_u32 s23, s18, s25
	global_load_dword v10, v[8:9], off
	s_add_i32 s15, s15, s22
	s_mul_i32 s20, s18, s25
	s_add_i32 s15, s15, s21
	s_mul_i32 s25, s18, s29
	s_lshl_b64 s[14:15], s[14:15], 2
	s_add_u32 s22, s2, s14
	s_addc_u32 s26, s3, s15
	s_add_i32 s14, s23, s25
	s_add_i32 s21, s14, s24
	s_lshl_b64 s[14:15], s[20:21], 2
	s_add_u32 s14, s22, s14
	s_addc_u32 s15, s26, s15
	v_add_co_u32 v8, vcc_lo, s14, v4
	v_add_co_ci_u32_e64 v9, null, s15, v5, vcc_lo
	s_add_i32 s7, s7, s4
	v_add_co_u32 v8, vcc_lo, v8, v6
	v_add_co_ci_u32_e64 v9, null, v9, v7, vcc_lo
	s_cmp_ge_i32 s7, s33
	s_waitcnt vmcnt(0)
	global_store_dword v[8:9], v10, off
	s_cbranch_scc0 .LBB2_9
.LBB2_10:
	s_endpgm
	.section	.rodata,"a",@progbits
	.p2align	6, 0x0
	.amdhsa_kernel _ZN2at6native12_GLOBAL__N_137upsample_bicubic2d_out_frame_parallelIffEEviT0_S3_bN5torch10headeronly6detail27GenericPackedTensorAccessorINS6_14TensorAccessorIN3c108ArrayRefIlEEKT_Lm3ENS5_16DefaultPtrTraitsElEENS_6detail16IndexBoundsCheckILm4ElEESD_Lm4ESE_lEENS7_INS8_ISB_SC_Lm3ESE_lEESI_SC_Lm4ESE_lEE
		.amdhsa_group_segment_fixed_size 0
		.amdhsa_private_segment_fixed_size 0
		.amdhsa_kernarg_size 416
		.amdhsa_user_sgpr_count 6
		.amdhsa_user_sgpr_private_segment_buffer 1
		.amdhsa_user_sgpr_dispatch_ptr 0
		.amdhsa_user_sgpr_queue_ptr 0
		.amdhsa_user_sgpr_kernarg_segment_ptr 1
		.amdhsa_user_sgpr_dispatch_id 0
		.amdhsa_user_sgpr_flat_scratch_init 0
		.amdhsa_user_sgpr_private_segment_size 0
		.amdhsa_wavefront_size32 1
		.amdhsa_uses_dynamic_stack 0
		.amdhsa_system_sgpr_private_segment_wavefront_offset 0
		.amdhsa_system_sgpr_workgroup_id_x 1
		.amdhsa_system_sgpr_workgroup_id_y 0
		.amdhsa_system_sgpr_workgroup_id_z 1
		.amdhsa_system_sgpr_workgroup_info 0
		.amdhsa_system_vgpr_workitem_id 0
		.amdhsa_next_free_vgpr 60
		.amdhsa_next_free_sgpr 44
		.amdhsa_reserve_vcc 1
		.amdhsa_reserve_flat_scratch 0
		.amdhsa_float_round_mode_32 0
		.amdhsa_float_round_mode_16_64 0
		.amdhsa_float_denorm_mode_32 3
		.amdhsa_float_denorm_mode_16_64 3
		.amdhsa_dx10_clamp 1
		.amdhsa_ieee_mode 1
		.amdhsa_fp16_overflow 0
		.amdhsa_workgroup_processor_mode 1
		.amdhsa_memory_ordered 1
		.amdhsa_forward_progress 1
		.amdhsa_shared_vgpr_count 0
		.amdhsa_exception_fp_ieee_invalid_op 0
		.amdhsa_exception_fp_denorm_src 0
		.amdhsa_exception_fp_ieee_div_zero 0
		.amdhsa_exception_fp_ieee_overflow 0
		.amdhsa_exception_fp_ieee_underflow 0
		.amdhsa_exception_fp_ieee_inexact 0
		.amdhsa_exception_int_div_zero 0
	.end_amdhsa_kernel
	.section	.text._ZN2at6native12_GLOBAL__N_137upsample_bicubic2d_out_frame_parallelIffEEviT0_S3_bN5torch10headeronly6detail27GenericPackedTensorAccessorINS6_14TensorAccessorIN3c108ArrayRefIlEEKT_Lm3ENS5_16DefaultPtrTraitsElEENS_6detail16IndexBoundsCheckILm4ElEESD_Lm4ESE_lEENS7_INS8_ISB_SC_Lm3ESE_lEESI_SC_Lm4ESE_lEE,"axG",@progbits,_ZN2at6native12_GLOBAL__N_137upsample_bicubic2d_out_frame_parallelIffEEviT0_S3_bN5torch10headeronly6detail27GenericPackedTensorAccessorINS6_14TensorAccessorIN3c108ArrayRefIlEEKT_Lm3ENS5_16DefaultPtrTraitsElEENS_6detail16IndexBoundsCheckILm4ElEESD_Lm4ESE_lEENS7_INS8_ISB_SC_Lm3ESE_lEESI_SC_Lm4ESE_lEE,comdat
.Lfunc_end2:
	.size	_ZN2at6native12_GLOBAL__N_137upsample_bicubic2d_out_frame_parallelIffEEviT0_S3_bN5torch10headeronly6detail27GenericPackedTensorAccessorINS6_14TensorAccessorIN3c108ArrayRefIlEEKT_Lm3ENS5_16DefaultPtrTraitsElEENS_6detail16IndexBoundsCheckILm4ElEESD_Lm4ESE_lEENS7_INS8_ISB_SC_Lm3ESE_lEESI_SC_Lm4ESE_lEE, .Lfunc_end2-_ZN2at6native12_GLOBAL__N_137upsample_bicubic2d_out_frame_parallelIffEEviT0_S3_bN5torch10headeronly6detail27GenericPackedTensorAccessorINS6_14TensorAccessorIN3c108ArrayRefIlEEKT_Lm3ENS5_16DefaultPtrTraitsElEENS_6detail16IndexBoundsCheckILm4ElEESD_Lm4ESE_lEENS7_INS8_ISB_SC_Lm3ESE_lEESI_SC_Lm4ESE_lEE
                                        ; -- End function
	.set _ZN2at6native12_GLOBAL__N_137upsample_bicubic2d_out_frame_parallelIffEEviT0_S3_bN5torch10headeronly6detail27GenericPackedTensorAccessorINS6_14TensorAccessorIN3c108ArrayRefIlEEKT_Lm3ENS5_16DefaultPtrTraitsElEENS_6detail16IndexBoundsCheckILm4ElEESD_Lm4ESE_lEENS7_INS8_ISB_SC_Lm3ESE_lEESI_SC_Lm4ESE_lEE.num_vgpr, 60
	.set _ZN2at6native12_GLOBAL__N_137upsample_bicubic2d_out_frame_parallelIffEEviT0_S3_bN5torch10headeronly6detail27GenericPackedTensorAccessorINS6_14TensorAccessorIN3c108ArrayRefIlEEKT_Lm3ENS5_16DefaultPtrTraitsElEENS_6detail16IndexBoundsCheckILm4ElEESD_Lm4ESE_lEENS7_INS8_ISB_SC_Lm3ESE_lEESI_SC_Lm4ESE_lEE.num_agpr, 0
	.set _ZN2at6native12_GLOBAL__N_137upsample_bicubic2d_out_frame_parallelIffEEviT0_S3_bN5torch10headeronly6detail27GenericPackedTensorAccessorINS6_14TensorAccessorIN3c108ArrayRefIlEEKT_Lm3ENS5_16DefaultPtrTraitsElEENS_6detail16IndexBoundsCheckILm4ElEESD_Lm4ESE_lEENS7_INS8_ISB_SC_Lm3ESE_lEESI_SC_Lm4ESE_lEE.numbered_sgpr, 44
	.set _ZN2at6native12_GLOBAL__N_137upsample_bicubic2d_out_frame_parallelIffEEviT0_S3_bN5torch10headeronly6detail27GenericPackedTensorAccessorINS6_14TensorAccessorIN3c108ArrayRefIlEEKT_Lm3ENS5_16DefaultPtrTraitsElEENS_6detail16IndexBoundsCheckILm4ElEESD_Lm4ESE_lEENS7_INS8_ISB_SC_Lm3ESE_lEESI_SC_Lm4ESE_lEE.num_named_barrier, 0
	.set _ZN2at6native12_GLOBAL__N_137upsample_bicubic2d_out_frame_parallelIffEEviT0_S3_bN5torch10headeronly6detail27GenericPackedTensorAccessorINS6_14TensorAccessorIN3c108ArrayRefIlEEKT_Lm3ENS5_16DefaultPtrTraitsElEENS_6detail16IndexBoundsCheckILm4ElEESD_Lm4ESE_lEENS7_INS8_ISB_SC_Lm3ESE_lEESI_SC_Lm4ESE_lEE.private_seg_size, 0
	.set _ZN2at6native12_GLOBAL__N_137upsample_bicubic2d_out_frame_parallelIffEEviT0_S3_bN5torch10headeronly6detail27GenericPackedTensorAccessorINS6_14TensorAccessorIN3c108ArrayRefIlEEKT_Lm3ENS5_16DefaultPtrTraitsElEENS_6detail16IndexBoundsCheckILm4ElEESD_Lm4ESE_lEENS7_INS8_ISB_SC_Lm3ESE_lEESI_SC_Lm4ESE_lEE.uses_vcc, 1
	.set _ZN2at6native12_GLOBAL__N_137upsample_bicubic2d_out_frame_parallelIffEEviT0_S3_bN5torch10headeronly6detail27GenericPackedTensorAccessorINS6_14TensorAccessorIN3c108ArrayRefIlEEKT_Lm3ENS5_16DefaultPtrTraitsElEENS_6detail16IndexBoundsCheckILm4ElEESD_Lm4ESE_lEENS7_INS8_ISB_SC_Lm3ESE_lEESI_SC_Lm4ESE_lEE.uses_flat_scratch, 0
	.set _ZN2at6native12_GLOBAL__N_137upsample_bicubic2d_out_frame_parallelIffEEviT0_S3_bN5torch10headeronly6detail27GenericPackedTensorAccessorINS6_14TensorAccessorIN3c108ArrayRefIlEEKT_Lm3ENS5_16DefaultPtrTraitsElEENS_6detail16IndexBoundsCheckILm4ElEESD_Lm4ESE_lEENS7_INS8_ISB_SC_Lm3ESE_lEESI_SC_Lm4ESE_lEE.has_dyn_sized_stack, 0
	.set _ZN2at6native12_GLOBAL__N_137upsample_bicubic2d_out_frame_parallelIffEEviT0_S3_bN5torch10headeronly6detail27GenericPackedTensorAccessorINS6_14TensorAccessorIN3c108ArrayRefIlEEKT_Lm3ENS5_16DefaultPtrTraitsElEENS_6detail16IndexBoundsCheckILm4ElEESD_Lm4ESE_lEENS7_INS8_ISB_SC_Lm3ESE_lEESI_SC_Lm4ESE_lEE.has_recursion, 0
	.set _ZN2at6native12_GLOBAL__N_137upsample_bicubic2d_out_frame_parallelIffEEviT0_S3_bN5torch10headeronly6detail27GenericPackedTensorAccessorINS6_14TensorAccessorIN3c108ArrayRefIlEEKT_Lm3ENS5_16DefaultPtrTraitsElEENS_6detail16IndexBoundsCheckILm4ElEESD_Lm4ESE_lEENS7_INS8_ISB_SC_Lm3ESE_lEESI_SC_Lm4ESE_lEE.has_indirect_call, 0
	.section	.AMDGPU.csdata,"",@progbits
; Kernel info:
; codeLenInByte = 2624
; TotalNumSgprs: 46
; NumVgprs: 60
; ScratchSize: 0
; MemoryBound: 0
; FloatMode: 240
; IeeeMode: 1
; LDSByteSize: 0 bytes/workgroup (compile time only)
; SGPRBlocks: 0
; VGPRBlocks: 7
; NumSGPRsForWavesPerEU: 46
; NumVGPRsForWavesPerEU: 60
; Occupancy: 16
; WaveLimiterHint : 1
; COMPUTE_PGM_RSRC2:SCRATCH_EN: 0
; COMPUTE_PGM_RSRC2:USER_SGPR: 6
; COMPUTE_PGM_RSRC2:TRAP_HANDLER: 0
; COMPUTE_PGM_RSRC2:TGID_X_EN: 1
; COMPUTE_PGM_RSRC2:TGID_Y_EN: 0
; COMPUTE_PGM_RSRC2:TGID_Z_EN: 1
; COMPUTE_PGM_RSRC2:TIDIG_COMP_CNT: 0
	.section	.text._ZN2at6native12_GLOBAL__N_128upsample_bicubic2d_out_frameIffEEviT0_S3_bN5torch10headeronly6detail27GenericPackedTensorAccessorINS6_14TensorAccessorIN3c108ArrayRefIlEEKT_Lm3ENS5_16DefaultPtrTraitsElEENS_6detail16IndexBoundsCheckILm4ElEESD_Lm4ESE_lEENS7_INS8_ISB_SC_Lm3ESE_lEESI_SC_Lm4ESE_lEE,"axG",@progbits,_ZN2at6native12_GLOBAL__N_128upsample_bicubic2d_out_frameIffEEviT0_S3_bN5torch10headeronly6detail27GenericPackedTensorAccessorINS6_14TensorAccessorIN3c108ArrayRefIlEEKT_Lm3ENS5_16DefaultPtrTraitsElEENS_6detail16IndexBoundsCheckILm4ElEESD_Lm4ESE_lEENS7_INS8_ISB_SC_Lm3ESE_lEESI_SC_Lm4ESE_lEE,comdat
	.globl	_ZN2at6native12_GLOBAL__N_128upsample_bicubic2d_out_frameIffEEviT0_S3_bN5torch10headeronly6detail27GenericPackedTensorAccessorINS6_14TensorAccessorIN3c108ArrayRefIlEEKT_Lm3ENS5_16DefaultPtrTraitsElEENS_6detail16IndexBoundsCheckILm4ElEESD_Lm4ESE_lEENS7_INS8_ISB_SC_Lm3ESE_lEESI_SC_Lm4ESE_lEE ; -- Begin function _ZN2at6native12_GLOBAL__N_128upsample_bicubic2d_out_frameIffEEviT0_S3_bN5torch10headeronly6detail27GenericPackedTensorAccessorINS6_14TensorAccessorIN3c108ArrayRefIlEEKT_Lm3ENS5_16DefaultPtrTraitsElEENS_6detail16IndexBoundsCheckILm4ElEESD_Lm4ESE_lEENS7_INS8_ISB_SC_Lm3ESE_lEESI_SC_Lm4ESE_lEE
	.p2align	8
	.type	_ZN2at6native12_GLOBAL__N_128upsample_bicubic2d_out_frameIffEEviT0_S3_bN5torch10headeronly6detail27GenericPackedTensorAccessorINS6_14TensorAccessorIN3c108ArrayRefIlEEKT_Lm3ENS5_16DefaultPtrTraitsElEENS_6detail16IndexBoundsCheckILm4ElEESD_Lm4ESE_lEENS7_INS8_ISB_SC_Lm3ESE_lEESI_SC_Lm4ESE_lEE,@function
_ZN2at6native12_GLOBAL__N_128upsample_bicubic2d_out_frameIffEEviT0_S3_bN5torch10headeronly6detail27GenericPackedTensorAccessorINS6_14TensorAccessorIN3c108ArrayRefIlEEKT_Lm3ENS5_16DefaultPtrTraitsElEENS_6detail16IndexBoundsCheckILm4ElEESD_Lm4ESE_lEENS7_INS8_ISB_SC_Lm3ESE_lEESI_SC_Lm4ESE_lEE: ; @_ZN2at6native12_GLOBAL__N_128upsample_bicubic2d_out_frameIffEEviT0_S3_bN5torch10headeronly6detail27GenericPackedTensorAccessorINS6_14TensorAccessorIN3c108ArrayRefIlEEKT_Lm3ENS5_16DefaultPtrTraitsElEENS_6detail16IndexBoundsCheckILm4ElEESD_Lm4ESE_lEENS7_INS8_ISB_SC_Lm3ESE_lEESI_SC_Lm4ESE_lEE
; %bb.0:
	s_clause 0x1
	s_load_dword s7, s[4:5], 0xac
	s_load_dwordx4 s[0:3], s[4:5], 0x0
	s_waitcnt lgkmcnt(0)
	s_and_b32 s7, s7, 0xffff
	v_mad_u64_u32 v[0:1], null, s6, s7, v[0:1]
	v_cmp_gt_i32_e32 vcc_lo, s0, v0
	s_and_saveexec_b32 s0, vcc_lo
	s_cbranch_execz .LBB3_14
; %bb.1:
	s_load_dwordx4 s[16:19], s[4:5], 0x70
	v_sub_nc_u32_e32 v3, 0, v0
	s_load_dwordx8 s[8:15], s[4:5], 0x18
	v_max_i32_e32 v3, v0, v3
	s_waitcnt lgkmcnt(0)
	s_abs_i32 s0, s18
	v_cvt_f32_u32_e32 v1, s0
	s_sub_i32 s6, 0, s0
	s_cmp_lg_u32 s12, s16
	v_rcp_iflag_f32_e32 v1, v1
	v_mul_f32_e32 v1, 0x4f7ffffe, v1
	v_cvt_u32_f32_e32 v1, v1
	v_mul_lo_u32 v2, s6, v1
	v_mul_hi_u32 v2, v1, v2
	v_add_nc_u32_e32 v1, v1, v2
	v_mul_hi_u32 v1, v3, v1
	v_mul_lo_u32 v2, v1, s0
	v_sub_nc_u32_e32 v2, v3, v2
	v_add_nc_u32_e32 v3, 1, v1
	v_subrev_nc_u32_e32 v4, s0, v2
	v_cmp_le_u32_e32 vcc_lo, s0, v2
	v_cndmask_b32_e32 v1, v1, v3, vcc_lo
	v_cndmask_b32_e32 v2, v2, v4, vcc_lo
	v_xor_b32_e32 v3, s18, v0
	v_add_nc_u32_e32 v4, 1, v1
	v_cmp_le_u32_e32 vcc_lo, s0, v2
	v_ashrrev_i32_e32 v3, 31, v3
	s_cselect_b32 s0, -1, 0
	s_cmp_lg_u32 s14, s18
	v_cndmask_b32_e32 v1, v1, v4, vcc_lo
	s_cselect_b32 s6, -1, 0
	s_or_b32 s0, s6, s0
	s_cmp_gt_i32 s8, 0
	v_xor_b32_e32 v1, v1, v3
	s_cselect_b32 s9, -1, 0
	s_and_b32 vcc_lo, exec_lo, s0
	s_mov_b32 s0, -1
	v_sub_nc_u32_e32 v4, v1, v3
	v_mul_lo_u32 v1, v4, s18
	v_sub_nc_u32_e32 v5, v0, v1
	s_cbranch_vccz .LBB3_8
; %bb.2:
	s_andn2_b32 vcc_lo, exec_lo, s9
	s_cbranch_vccnz .LBB3_7
; %bb.3:
	v_cvt_f32_i32_e32 v0, v4
	v_cvt_f32_i32_e32 v1, v5
	s_bitcmp1_b32 s3, 0
	s_mov_b32 s7, 0x3fa00000
	s_cselect_b32 vcc_lo, -1, 0
	v_add_f32_e32 v2, 0.5, v0
	v_add_f32_e32 v3, 0.5, v1
	v_mul_f32_e32 v0, s1, v0
	v_mul_f32_e32 v1, s2, v1
	s_cmp_gt_i32 s10, 0
	v_fma_f32 v2, s1, v2, -0.5
	v_fma_f32 v3, s2, v3, -0.5
	s_cselect_b32 s33, -1, 0
	s_add_i32 s13, s14, -1
	s_load_dwordx8 s[24:31], s[4:5], 0x80
	v_cndmask_b32_e32 v0, v2, v0, vcc_lo
	v_cndmask_b32_e32 v1, v3, v1, vcc_lo
	s_mov_b32 s6, 0xbf400000
	s_clause 0x1
	s_load_dwordx8 s[16:23], s[4:5], 0x38
	s_load_dwordx2 s[2:3], s[4:5], 0x58
	s_add_i32 s12, s12, -1
	v_floor_f32_e32 v2, v0
	v_floor_f32_e32 v3, v1
	s_load_dwordx2 s[0:1], s[4:5], 0x10
	s_mov_b32 s11, 0
	v_cvt_i32_f32_e32 v18, v2
	v_cvt_i32_f32_e32 v2, v3
	v_cvt_f32_i32_e32 v3, v18
	v_cvt_f32_i32_e32 v6, v2
	v_add_nc_u32_e32 v7, -1, v2
	v_add_nc_u32_e32 v9, 1, v2
	v_min_i32_e32 v8, s13, v2
	v_sub_f32_e32 v12, v0, v3
	v_sub_f32_e32 v0, v1, v6
	v_min_i32_e32 v1, s13, v7
	v_add_nc_u32_e32 v2, 2, v2
	v_min_i32_e32 v3, s13, v9
	v_add_f32_e32 v10, 1.0, v12
	v_add_f32_e32 v6, 1.0, v0
	v_max_i32_e32 v21, 0, v1
	v_sub_f32_e32 v1, 1.0, v0
	v_min_i32_e32 v2, s13, v2
	v_max_i32_e32 v28, 0, v3
	v_fmaak_f32 v3, s7, v0, 0xc0100000
	v_max_i32_e32 v20, 0, v8
	v_add_f32_e32 v9, 1.0, v1
	v_max_i32_e32 v29, 0, v2
	v_fmaak_f32 v2, s6, v6, 0x40700000
	v_fmaak_f32 v7, s7, v1, 0xc0100000
	v_mul_f32_e32 v3, v0, v3
	v_fmaak_f32 v13, s6, v9, 0x40700000
	v_fmaak_f32 v8, s6, v10, 0x40700000
	;; [unrolled: 1-line block ×3, first 2 shown]
	v_mul_f32_e32 v14, v1, v7
	v_fma_f32 v7, v0, v3, 1.0
	v_fmaak_f32 v0, v9, v13, 0xc0c00000
	v_sub_f32_e32 v15, 1.0, v12
	v_fmaak_f32 v6, v6, v2, 0x40400000
	v_fmaak_f32 v2, v10, v8, 0xc0c00000
	v_fma_f32 v8, v1, v14, 1.0
	v_fmaak_f32 v1, s7, v12, 0xc0100000
	v_fmaak_f32 v9, v9, v0, 0x40400000
	v_ashrrev_i32_e32 v0, 31, v4
	v_add_nc_u32_e32 v11, -1, v18
	v_add_f32_e32 v16, 1.0, v15
	v_mul_f32_e32 v13, v12, v1
	s_waitcnt lgkmcnt(0)
	v_mul_lo_u32 v17, s29, v4
	v_mul_lo_u32 v19, s28, v0
	v_mad_u64_u32 v[0:1], null, s28, v4, 0
	v_fmaak_f32 v3, s7, v15, 0xc0100000
	v_fmaak_f32 v10, v10, v2, 0x40400000
	v_ashrrev_i32_e32 v2, 31, v5
	v_fmaak_f32 v22, s6, v16, 0x40700000
	v_min_i32_e32 v25, s12, v11
	v_mul_f32_e32 v14, v15, v3
	v_mul_lo_u32 v23, s31, v5
	v_mul_lo_u32 v24, s30, v2
	v_mad_u64_u32 v[2:3], null, s30, v5, 0
	v_fmaak_f32 v22, v16, v22, 0xc0c00000
	v_add3_u32 v1, v1, v19, v17
	v_max_i32_e32 v19, 0, v25
	v_fma_f32 v11, v12, v13, 1.0
	v_fma_f32 v12, v15, v14, 1.0
	v_fmaak_f32 v13, v16, v22, 0x40400000
	v_lshlrev_b64 v[0:1], 2, v[0:1]
	v_mad_u64_u32 v[14:15], null, s20, v19, 0
	v_mad_u64_u32 v[16:17], null, s22, v21, 0
	v_add3_u32 v3, v3, v24, v23
	v_add_co_u32 v22, vcc_lo, s2, v0
	v_add_co_ci_u32_e64 v23, null, s3, v1, vcc_lo
	v_lshlrev_b64 v[0:1], 2, v[2:3]
	v_mov_b32_e32 v2, v15
	v_mov_b32_e32 v3, v17
	v_min_i32_e32 v24, s12, v18
	v_add_nc_u32_e32 v15, 1, v18
	v_add_nc_u32_e32 v25, 2, v18
	v_add_co_u32 v0, vcc_lo, v22, v0
	v_mad_u64_u32 v[17:18], null, s21, v19, v[2:3]
	v_mad_u64_u32 v[18:19], null, s22, v20, 0
	;; [unrolled: 1-line block ×3, first 2 shown]
	v_add_co_ci_u32_e64 v1, null, v23, v1, vcc_lo
	v_max_i32_e32 v30, 0, v24
	v_min_i32_e32 v24, s12, v15
	v_mov_b32_e32 v3, v19
	v_mov_b32_e32 v15, v17
	;; [unrolled: 1-line block ×3, first 2 shown]
	v_mad_u64_u32 v[22:23], null, s22, v29, 0
	v_mad_u64_u32 v[2:3], null, s23, v20, v[3:4]
	;; [unrolled: 1-line block ×3, first 2 shown]
	v_min_i32_e32 v19, s12, v25
	v_mad_u64_u32 v[26:27], null, s20, v30, 0
	v_mov_b32_e32 v3, v23
	v_lshlrev_b64 v[38:39], 2, v[16:17]
	v_max_i32_e32 v32, 0, v19
	v_mov_b32_e32 v19, v2
	v_mov_b32_e32 v2, v21
	v_max_i32_e32 v31, 0, v24
	v_lshlrev_b64 v[24:25], 2, v[14:15]
	v_mad_u64_u32 v[36:37], null, s20, v32, 0
	v_mad_u64_u32 v[16:17], null, s23, v28, v[2:3]
	;; [unrolled: 1-line block ×3, first 2 shown]
	v_mov_b32_e32 v3, v27
	v_mad_u64_u32 v[28:29], null, s20, v31, 0
	v_lshlrev_b64 v[40:41], 2, v[18:19]
	v_mov_b32_e32 v21, v16
	v_add_co_u32 v14, vcc_lo, v24, v38
	v_mov_b32_e32 v23, v2
	v_mad_u64_u32 v[2:3], null, s21, v30, v[3:4]
	v_lshlrev_b64 v[42:43], 2, v[20:21]
	v_add_co_ci_u32_e64 v15, null, v25, v39, vcc_lo
	v_lshlrev_b64 v[44:45], 2, v[22:23]
	v_mov_b32_e32 v22, v29
	v_add_co_u32 v16, vcc_lo, v40, v24
	v_mov_b32_e32 v27, v2
	v_add_co_ci_u32_e64 v17, null, v41, v25, vcc_lo
	v_add_co_u32 v18, vcc_lo, v24, v42
	v_lshlrev_b64 v[2:3], 2, v[26:27]
	v_mad_u64_u32 v[26:27], null, s21, v31, v[22:23]
	v_add_co_ci_u32_e64 v19, null, v25, v43, vcc_lo
	v_add_co_u32 v20, vcc_lo, v24, v44
	v_add_co_ci_u32_e64 v21, null, v25, v45, vcc_lo
	v_add_co_u32 v22, vcc_lo, v2, v38
	v_mov_b32_e32 v29, v26
	v_add_co_ci_u32_e64 v23, null, v3, v39, vcc_lo
	v_add_co_u32 v24, vcc_lo, v2, v40
	v_mov_b32_e32 v30, v37
	v_add_co_ci_u32_e64 v25, null, v3, v41, vcc_lo
	v_add_co_u32 v26, vcc_lo, v2, v42
	v_add_co_ci_u32_e64 v27, null, v3, v43, vcc_lo
	v_lshlrev_b64 v[46:47], 2, v[28:29]
	v_add_co_u32 v28, vcc_lo, v2, v44
	v_add_co_ci_u32_e64 v29, null, v3, v45, vcc_lo
	v_mad_u64_u32 v[2:3], null, s21, v32, v[30:31]
	v_add_co_u32 v30, vcc_lo, v38, v46
	v_add_co_ci_u32_e64 v31, null, v39, v47, vcc_lo
	v_add_co_u32 v32, vcc_lo, v40, v46
	v_mov_b32_e32 v37, v2
	v_add_co_ci_u32_e64 v33, null, v41, v47, vcc_lo
	v_add_co_u32 v34, vcc_lo, v46, v42
	v_lshlrev_b64 v[2:3], 2, v[36:37]
	v_add_co_ci_u32_e64 v35, null, v47, v43, vcc_lo
	v_add_co_u32 v36, vcc_lo, v44, v46
	v_add_co_ci_u32_e64 v37, null, v45, v47, vcc_lo
	v_add_co_u32 v38, vcc_lo, v38, v2
	;; [unrolled: 2-line block ×5, first 2 shown]
	v_add_co_ci_u32_e64 v45, null, v3, v45, vcc_lo
	s_lshl_b64 s[2:3], s[24:25], 2
	s_lshl_b64 s[6:7], s[26:27], 2
	s_lshl_b64 s[12:13], s[16:17], 2
	s_lshl_b64 s[14:15], s[18:19], 2
	s_branch .LBB3_5
.LBB3_4:                                ;   in Loop: Header=BB3_5 Depth=1
	v_add_co_u32 v0, vcc_lo, v0, s2
	s_add_i32 s11, s11, 1
	v_add_co_ci_u32_e64 v1, null, s3, v1, vcc_lo
	s_add_u32 s0, s0, s12
	s_addc_u32 s1, s1, s13
	s_cmp_lg_u32 s11, s8
	s_cbranch_scc0 .LBB3_7
.LBB3_5:                                ; =>This Loop Header: Depth=1
                                        ;     Child Loop BB3_6 Depth 2
	v_mov_b32_e32 v3, v1
	v_mov_b32_e32 v2, v0
	s_andn2_b32 vcc_lo, exec_lo, s33
	s_mov_b64 s[16:17], s[0:1]
	s_mov_b32 s18, s10
	s_cbranch_vccnz .LBB3_4
.LBB3_6:                                ;   Parent Loop BB3_5 Depth=1
                                        ; =>  This Inner Loop Header: Depth=2
	v_add_co_u32 v46, vcc_lo, s16, v14
	v_add_co_ci_u32_e64 v47, null, s17, v15, vcc_lo
	v_add_co_u32 v48, vcc_lo, s16, v16
	v_add_co_ci_u32_e64 v49, null, s17, v17, vcc_lo
	;; [unrolled: 2-line block ×9, first 2 shown]
	s_clause 0x1
	global_load_dword v64, v[46:47], off
	global_load_dword v65, v[48:49], off
	v_add_co_u32 v46, vcc_lo, s16, v32
	v_add_co_ci_u32_e64 v47, null, s17, v33, vcc_lo
	v_add_co_u32 v48, vcc_lo, s16, v38
	s_clause 0x1
	global_load_dword v66, v[50:51], off
	global_load_dword v67, v[52:53], off
	v_add_co_ci_u32_e64 v49, null, s17, v39, vcc_lo
	v_add_co_u32 v50, vcc_lo, s16, v40
	s_clause 0x5
	global_load_dword v54, v[54:55], off
	global_load_dword v55, v[56:57], off
	;; [unrolled: 1-line block ×6, first 2 shown]
	v_add_co_ci_u32_e64 v51, null, s17, v41, vcc_lo
	v_add_co_u32 v52, vcc_lo, s16, v34
	v_add_co_ci_u32_e64 v53, null, s17, v35, vcc_lo
	v_add_co_u32 v46, vcc_lo, s16, v42
	v_add_co_ci_u32_e64 v47, null, s17, v43, vcc_lo
	s_clause 0x1
	global_load_dword v60, v[48:49], off
	global_load_dword v50, v[50:51], off
	v_add_co_u32 v48, vcc_lo, s16, v44
	v_add_co_ci_u32_e64 v49, null, s17, v45, vcc_lo
	s_clause 0x1
	global_load_dword v51, v[52:53], off
	global_load_dword v52, v[46:47], off
	;; [unrolled: 5-line block ×3, first 2 shown]
	s_add_i32 s18, s18, -1
	s_add_u32 s16, s16, s14
	s_addc_u32 s17, s17, s15
	s_cmp_lg_u32 s18, 0
	s_waitcnt vmcnt(14)
	v_mul_f32_e32 v47, v7, v65
	v_fmac_f32_e32 v47, v6, v64
	s_waitcnt vmcnt(13)
	v_fmac_f32_e32 v47, v8, v66
	s_waitcnt vmcnt(10)
	v_mul_f32_e32 v49, v7, v55
	s_waitcnt vmcnt(6)
	v_mul_f32_e32 v53, v7, v59
	v_fmac_f32_e32 v47, v9, v67
	v_fmac_f32_e32 v49, v6, v54
	;; [unrolled: 1-line block ×4, first 2 shown]
	s_waitcnt vmcnt(4)
	v_mul_f32_e32 v50, v7, v50
	v_fmac_f32_e32 v49, v9, v57
	s_waitcnt vmcnt(3)
	v_fmac_f32_e32 v53, v8, v51
	v_fmac_f32_e32 v50, v6, v60
	s_waitcnt vmcnt(2)
	v_fmac_f32_e32 v50, v8, v52
	s_waitcnt vmcnt(0)
	v_fmac_f32_e32 v53, v9, v46
	v_mul_f32_e32 v46, v10, v47
	v_fmac_f32_e32 v50, v9, v48
	v_fmac_f32_e32 v46, v11, v49
	;; [unrolled: 1-line block ×4, first 2 shown]
	global_store_dword v[2:3], v46, off
	v_add_co_u32 v2, vcc_lo, v2, s6
	v_add_co_ci_u32_e64 v3, null, s7, v3, vcc_lo
	s_cbranch_scc1 .LBB3_6
	s_branch .LBB3_4
.LBB3_7:
	s_mov_b32 s0, 0
.LBB3_8:
	s_andn2_b32 vcc_lo, exec_lo, s0
	s_cbranch_vccnz .LBB3_14
; %bb.9:
	s_andn2_b32 vcc_lo, exec_lo, s9
	s_cbranch_vccnz .LBB3_14
; %bb.10:
	s_clause 0x1
	s_load_dwordx8 s[12:19], s[4:5], 0x38
	s_load_dwordx8 s[20:27], s[4:5], 0x80
	v_ashrrev_i32_e32 v6, 31, v4
	s_clause 0x1
	s_load_dwordx2 s[0:1], s[4:5], 0x10
	s_load_dwordx2 s[2:3], s[4:5], 0x58
	v_ashrrev_i32_e32 v8, 31, v5
	s_cmp_gt_i32 s10, 0
	s_mov_b32 s9, 0
	s_cselect_b32 s11, -1, 0
	s_waitcnt lgkmcnt(0)
	v_mul_lo_u32 v9, s17, v4
	v_mul_lo_u32 v10, s16, v6
	v_mad_u64_u32 v[0:1], null, s16, v4, 0
	v_mul_lo_u32 v13, s25, v4
	v_mul_lo_u32 v14, s24, v6
	v_mad_u64_u32 v[6:7], null, s24, v4, 0
	v_mul_lo_u32 v11, s19, v5
	v_mul_lo_u32 v12, s18, v8
	v_mad_u64_u32 v[2:3], null, s18, v5, 0
	v_mul_lo_u32 v15, s27, v5
	v_mul_lo_u32 v8, s26, v8
	v_mad_u64_u32 v[4:5], null, s26, v5, 0
	v_add3_u32 v1, v1, v10, v9
	v_add3_u32 v7, v7, v14, v13
	;; [unrolled: 1-line block ×3, first 2 shown]
	s_lshl_b64 s[4:5], s[12:13], 2
	s_lshl_b64 s[6:7], s[14:15], 2
	v_lshlrev_b64 v[0:1], 2, v[0:1]
	v_add3_u32 v5, v5, v8, v15
	v_lshlrev_b64 v[6:7], 2, v[6:7]
	v_lshlrev_b64 v[2:3], 2, v[2:3]
	v_add_co_u32 v0, vcc_lo, s0, v0
	v_lshlrev_b64 v[4:5], 2, v[4:5]
	v_add_co_ci_u32_e64 v1, null, s1, v1, vcc_lo
	v_add_co_u32 v6, vcc_lo, s2, v6
	v_add_co_ci_u32_e64 v7, null, s3, v7, vcc_lo
	v_add_co_u32 v0, vcc_lo, v0, v2
	v_add_co_ci_u32_e64 v1, null, v1, v3, vcc_lo
	v_add_co_u32 v2, vcc_lo, v6, v4
	v_add_co_ci_u32_e64 v3, null, v7, v5, vcc_lo
	s_lshl_b64 s[0:1], s[20:21], 2
	s_lshl_b64 s[2:3], s[22:23], 2
	s_inst_prefetch 0x1
	s_branch .LBB3_12
	.p2align	6
.LBB3_11:                               ;   in Loop: Header=BB3_12 Depth=1
	v_add_co_u32 v2, vcc_lo, v2, s0
	v_add_co_ci_u32_e64 v3, null, s1, v3, vcc_lo
	v_add_co_u32 v0, vcc_lo, v0, s4
	v_add_co_ci_u32_e64 v1, null, s5, v1, vcc_lo
	s_add_i32 s9, s9, 1
	s_cmp_eq_u32 s9, s8
	s_cbranch_scc1 .LBB3_14
.LBB3_12:                               ; =>This Loop Header: Depth=1
                                        ;     Child Loop BB3_13 Depth 2
	v_mov_b32_e32 v5, v1
	v_mov_b32_e32 v7, v3
	;; [unrolled: 1-line block ×4, first 2 shown]
	s_andn2_b32 vcc_lo, exec_lo, s11
	s_mov_b32 s12, s10
	s_cbranch_vccnz .LBB3_11
.LBB3_13:                               ;   Parent Loop BB3_12 Depth=1
                                        ; =>  This Inner Loop Header: Depth=2
	global_load_dword v8, v[4:5], off
	v_add_co_u32 v4, vcc_lo, v4, s6
	v_add_co_ci_u32_e64 v5, null, s7, v5, vcc_lo
	s_add_i32 s12, s12, -1
	s_cmp_eq_u32 s12, 0
	s_waitcnt vmcnt(0)
	global_store_dword v[6:7], v8, off
	v_add_co_u32 v6, vcc_lo, v6, s2
	v_add_co_ci_u32_e64 v7, null, s3, v7, vcc_lo
	s_cbranch_scc0 .LBB3_13
	s_branch .LBB3_11
.LBB3_14:
	s_inst_prefetch 0x2
	s_endpgm
	.section	.rodata,"a",@progbits
	.p2align	6, 0x0
	.amdhsa_kernel _ZN2at6native12_GLOBAL__N_128upsample_bicubic2d_out_frameIffEEviT0_S3_bN5torch10headeronly6detail27GenericPackedTensorAccessorINS6_14TensorAccessorIN3c108ArrayRefIlEEKT_Lm3ENS5_16DefaultPtrTraitsElEENS_6detail16IndexBoundsCheckILm4ElEESD_Lm4ESE_lEENS7_INS8_ISB_SC_Lm3ESE_lEESI_SC_Lm4ESE_lEE
		.amdhsa_group_segment_fixed_size 0
		.amdhsa_private_segment_fixed_size 0
		.amdhsa_kernarg_size 416
		.amdhsa_user_sgpr_count 6
		.amdhsa_user_sgpr_private_segment_buffer 1
		.amdhsa_user_sgpr_dispatch_ptr 0
		.amdhsa_user_sgpr_queue_ptr 0
		.amdhsa_user_sgpr_kernarg_segment_ptr 1
		.amdhsa_user_sgpr_dispatch_id 0
		.amdhsa_user_sgpr_flat_scratch_init 0
		.amdhsa_user_sgpr_private_segment_size 0
		.amdhsa_wavefront_size32 1
		.amdhsa_uses_dynamic_stack 0
		.amdhsa_system_sgpr_private_segment_wavefront_offset 0
		.amdhsa_system_sgpr_workgroup_id_x 1
		.amdhsa_system_sgpr_workgroup_id_y 0
		.amdhsa_system_sgpr_workgroup_id_z 0
		.amdhsa_system_sgpr_workgroup_info 0
		.amdhsa_system_vgpr_workitem_id 0
		.amdhsa_next_free_vgpr 68
		.amdhsa_next_free_sgpr 34
		.amdhsa_reserve_vcc 1
		.amdhsa_reserve_flat_scratch 0
		.amdhsa_float_round_mode_32 0
		.amdhsa_float_round_mode_16_64 0
		.amdhsa_float_denorm_mode_32 3
		.amdhsa_float_denorm_mode_16_64 3
		.amdhsa_dx10_clamp 1
		.amdhsa_ieee_mode 1
		.amdhsa_fp16_overflow 0
		.amdhsa_workgroup_processor_mode 1
		.amdhsa_memory_ordered 1
		.amdhsa_forward_progress 1
		.amdhsa_shared_vgpr_count 0
		.amdhsa_exception_fp_ieee_invalid_op 0
		.amdhsa_exception_fp_denorm_src 0
		.amdhsa_exception_fp_ieee_div_zero 0
		.amdhsa_exception_fp_ieee_overflow 0
		.amdhsa_exception_fp_ieee_underflow 0
		.amdhsa_exception_fp_ieee_inexact 0
		.amdhsa_exception_int_div_zero 0
	.end_amdhsa_kernel
	.section	.text._ZN2at6native12_GLOBAL__N_128upsample_bicubic2d_out_frameIffEEviT0_S3_bN5torch10headeronly6detail27GenericPackedTensorAccessorINS6_14TensorAccessorIN3c108ArrayRefIlEEKT_Lm3ENS5_16DefaultPtrTraitsElEENS_6detail16IndexBoundsCheckILm4ElEESD_Lm4ESE_lEENS7_INS8_ISB_SC_Lm3ESE_lEESI_SC_Lm4ESE_lEE,"axG",@progbits,_ZN2at6native12_GLOBAL__N_128upsample_bicubic2d_out_frameIffEEviT0_S3_bN5torch10headeronly6detail27GenericPackedTensorAccessorINS6_14TensorAccessorIN3c108ArrayRefIlEEKT_Lm3ENS5_16DefaultPtrTraitsElEENS_6detail16IndexBoundsCheckILm4ElEESD_Lm4ESE_lEENS7_INS8_ISB_SC_Lm3ESE_lEESI_SC_Lm4ESE_lEE,comdat
.Lfunc_end3:
	.size	_ZN2at6native12_GLOBAL__N_128upsample_bicubic2d_out_frameIffEEviT0_S3_bN5torch10headeronly6detail27GenericPackedTensorAccessorINS6_14TensorAccessorIN3c108ArrayRefIlEEKT_Lm3ENS5_16DefaultPtrTraitsElEENS_6detail16IndexBoundsCheckILm4ElEESD_Lm4ESE_lEENS7_INS8_ISB_SC_Lm3ESE_lEESI_SC_Lm4ESE_lEE, .Lfunc_end3-_ZN2at6native12_GLOBAL__N_128upsample_bicubic2d_out_frameIffEEviT0_S3_bN5torch10headeronly6detail27GenericPackedTensorAccessorINS6_14TensorAccessorIN3c108ArrayRefIlEEKT_Lm3ENS5_16DefaultPtrTraitsElEENS_6detail16IndexBoundsCheckILm4ElEESD_Lm4ESE_lEENS7_INS8_ISB_SC_Lm3ESE_lEESI_SC_Lm4ESE_lEE
                                        ; -- End function
	.set _ZN2at6native12_GLOBAL__N_128upsample_bicubic2d_out_frameIffEEviT0_S3_bN5torch10headeronly6detail27GenericPackedTensorAccessorINS6_14TensorAccessorIN3c108ArrayRefIlEEKT_Lm3ENS5_16DefaultPtrTraitsElEENS_6detail16IndexBoundsCheckILm4ElEESD_Lm4ESE_lEENS7_INS8_ISB_SC_Lm3ESE_lEESI_SC_Lm4ESE_lEE.num_vgpr, 68
	.set _ZN2at6native12_GLOBAL__N_128upsample_bicubic2d_out_frameIffEEviT0_S3_bN5torch10headeronly6detail27GenericPackedTensorAccessorINS6_14TensorAccessorIN3c108ArrayRefIlEEKT_Lm3ENS5_16DefaultPtrTraitsElEENS_6detail16IndexBoundsCheckILm4ElEESD_Lm4ESE_lEENS7_INS8_ISB_SC_Lm3ESE_lEESI_SC_Lm4ESE_lEE.num_agpr, 0
	.set _ZN2at6native12_GLOBAL__N_128upsample_bicubic2d_out_frameIffEEviT0_S3_bN5torch10headeronly6detail27GenericPackedTensorAccessorINS6_14TensorAccessorIN3c108ArrayRefIlEEKT_Lm3ENS5_16DefaultPtrTraitsElEENS_6detail16IndexBoundsCheckILm4ElEESD_Lm4ESE_lEENS7_INS8_ISB_SC_Lm3ESE_lEESI_SC_Lm4ESE_lEE.numbered_sgpr, 34
	.set _ZN2at6native12_GLOBAL__N_128upsample_bicubic2d_out_frameIffEEviT0_S3_bN5torch10headeronly6detail27GenericPackedTensorAccessorINS6_14TensorAccessorIN3c108ArrayRefIlEEKT_Lm3ENS5_16DefaultPtrTraitsElEENS_6detail16IndexBoundsCheckILm4ElEESD_Lm4ESE_lEENS7_INS8_ISB_SC_Lm3ESE_lEESI_SC_Lm4ESE_lEE.num_named_barrier, 0
	.set _ZN2at6native12_GLOBAL__N_128upsample_bicubic2d_out_frameIffEEviT0_S3_bN5torch10headeronly6detail27GenericPackedTensorAccessorINS6_14TensorAccessorIN3c108ArrayRefIlEEKT_Lm3ENS5_16DefaultPtrTraitsElEENS_6detail16IndexBoundsCheckILm4ElEESD_Lm4ESE_lEENS7_INS8_ISB_SC_Lm3ESE_lEESI_SC_Lm4ESE_lEE.private_seg_size, 0
	.set _ZN2at6native12_GLOBAL__N_128upsample_bicubic2d_out_frameIffEEviT0_S3_bN5torch10headeronly6detail27GenericPackedTensorAccessorINS6_14TensorAccessorIN3c108ArrayRefIlEEKT_Lm3ENS5_16DefaultPtrTraitsElEENS_6detail16IndexBoundsCheckILm4ElEESD_Lm4ESE_lEENS7_INS8_ISB_SC_Lm3ESE_lEESI_SC_Lm4ESE_lEE.uses_vcc, 1
	.set _ZN2at6native12_GLOBAL__N_128upsample_bicubic2d_out_frameIffEEviT0_S3_bN5torch10headeronly6detail27GenericPackedTensorAccessorINS6_14TensorAccessorIN3c108ArrayRefIlEEKT_Lm3ENS5_16DefaultPtrTraitsElEENS_6detail16IndexBoundsCheckILm4ElEESD_Lm4ESE_lEENS7_INS8_ISB_SC_Lm3ESE_lEESI_SC_Lm4ESE_lEE.uses_flat_scratch, 0
	.set _ZN2at6native12_GLOBAL__N_128upsample_bicubic2d_out_frameIffEEviT0_S3_bN5torch10headeronly6detail27GenericPackedTensorAccessorINS6_14TensorAccessorIN3c108ArrayRefIlEEKT_Lm3ENS5_16DefaultPtrTraitsElEENS_6detail16IndexBoundsCheckILm4ElEESD_Lm4ESE_lEENS7_INS8_ISB_SC_Lm3ESE_lEESI_SC_Lm4ESE_lEE.has_dyn_sized_stack, 0
	.set _ZN2at6native12_GLOBAL__N_128upsample_bicubic2d_out_frameIffEEviT0_S3_bN5torch10headeronly6detail27GenericPackedTensorAccessorINS6_14TensorAccessorIN3c108ArrayRefIlEEKT_Lm3ENS5_16DefaultPtrTraitsElEENS_6detail16IndexBoundsCheckILm4ElEESD_Lm4ESE_lEENS7_INS8_ISB_SC_Lm3ESE_lEESI_SC_Lm4ESE_lEE.has_recursion, 0
	.set _ZN2at6native12_GLOBAL__N_128upsample_bicubic2d_out_frameIffEEviT0_S3_bN5torch10headeronly6detail27GenericPackedTensorAccessorINS6_14TensorAccessorIN3c108ArrayRefIlEEKT_Lm3ENS5_16DefaultPtrTraitsElEENS_6detail16IndexBoundsCheckILm4ElEESD_Lm4ESE_lEENS7_INS8_ISB_SC_Lm3ESE_lEESI_SC_Lm4ESE_lEE.has_indirect_call, 0
	.section	.AMDGPU.csdata,"",@progbits
; Kernel info:
; codeLenInByte = 2516
; TotalNumSgprs: 36
; NumVgprs: 68
; ScratchSize: 0
; MemoryBound: 0
; FloatMode: 240
; IeeeMode: 1
; LDSByteSize: 0 bytes/workgroup (compile time only)
; SGPRBlocks: 0
; VGPRBlocks: 8
; NumSGPRsForWavesPerEU: 36
; NumVGPRsForWavesPerEU: 68
; Occupancy: 12
; WaveLimiterHint : 1
; COMPUTE_PGM_RSRC2:SCRATCH_EN: 0
; COMPUTE_PGM_RSRC2:USER_SGPR: 6
; COMPUTE_PGM_RSRC2:TRAP_HANDLER: 0
; COMPUTE_PGM_RSRC2:TGID_X_EN: 1
; COMPUTE_PGM_RSRC2:TGID_Y_EN: 0
; COMPUTE_PGM_RSRC2:TGID_Z_EN: 0
; COMPUTE_PGM_RSRC2:TIDIG_COMP_CNT: 0
	.section	.text._ZN2at6native12_GLOBAL__N_137upsample_bicubic2d_out_frame_parallelIN3c104HalfEfEEviT0_S5_bN5torch10headeronly6detail27GenericPackedTensorAccessorINS8_14TensorAccessorINS3_8ArrayRefIlEEKT_Lm3ENS7_16DefaultPtrTraitsElEENS_6detail16IndexBoundsCheckILm4ElEESE_Lm4ESF_lEENS9_INSA_ISC_SD_Lm3ESF_lEESJ_SD_Lm4ESF_lEE,"axG",@progbits,_ZN2at6native12_GLOBAL__N_137upsample_bicubic2d_out_frame_parallelIN3c104HalfEfEEviT0_S5_bN5torch10headeronly6detail27GenericPackedTensorAccessorINS8_14TensorAccessorINS3_8ArrayRefIlEEKT_Lm3ENS7_16DefaultPtrTraitsElEENS_6detail16IndexBoundsCheckILm4ElEESE_Lm4ESF_lEENS9_INSA_ISC_SD_Lm3ESF_lEESJ_SD_Lm4ESF_lEE,comdat
	.globl	_ZN2at6native12_GLOBAL__N_137upsample_bicubic2d_out_frame_parallelIN3c104HalfEfEEviT0_S5_bN5torch10headeronly6detail27GenericPackedTensorAccessorINS8_14TensorAccessorINS3_8ArrayRefIlEEKT_Lm3ENS7_16DefaultPtrTraitsElEENS_6detail16IndexBoundsCheckILm4ElEESE_Lm4ESF_lEENS9_INSA_ISC_SD_Lm3ESF_lEESJ_SD_Lm4ESF_lEE ; -- Begin function _ZN2at6native12_GLOBAL__N_137upsample_bicubic2d_out_frame_parallelIN3c104HalfEfEEviT0_S5_bN5torch10headeronly6detail27GenericPackedTensorAccessorINS8_14TensorAccessorINS3_8ArrayRefIlEEKT_Lm3ENS7_16DefaultPtrTraitsElEENS_6detail16IndexBoundsCheckILm4ElEESE_Lm4ESF_lEENS9_INSA_ISC_SD_Lm3ESF_lEESJ_SD_Lm4ESF_lEE
	.p2align	8
	.type	_ZN2at6native12_GLOBAL__N_137upsample_bicubic2d_out_frame_parallelIN3c104HalfEfEEviT0_S5_bN5torch10headeronly6detail27GenericPackedTensorAccessorINS8_14TensorAccessorINS3_8ArrayRefIlEEKT_Lm3ENS7_16DefaultPtrTraitsElEENS_6detail16IndexBoundsCheckILm4ElEESE_Lm4ESF_lEENS9_INSA_ISC_SD_Lm3ESF_lEESJ_SD_Lm4ESF_lEE,@function
_ZN2at6native12_GLOBAL__N_137upsample_bicubic2d_out_frame_parallelIN3c104HalfEfEEviT0_S5_bN5torch10headeronly6detail27GenericPackedTensorAccessorINS8_14TensorAccessorINS3_8ArrayRefIlEEKT_Lm3ENS7_16DefaultPtrTraitsElEENS_6detail16IndexBoundsCheckILm4ElEESE_Lm4ESF_lEENS9_INSA_ISC_SD_Lm3ESF_lEESJ_SD_Lm4ESF_lEE: ; @_ZN2at6native12_GLOBAL__N_137upsample_bicubic2d_out_frame_parallelIN3c104HalfEfEEviT0_S5_bN5torch10headeronly6detail27GenericPackedTensorAccessorINS8_14TensorAccessorINS3_8ArrayRefIlEEKT_Lm3ENS7_16DefaultPtrTraitsElEENS_6detail16IndexBoundsCheckILm4ElEESE_Lm4ESF_lEENS9_INSA_ISC_SD_Lm3ESF_lEESJ_SD_Lm4ESF_lEE
; %bb.0:
	s_clause 0x1
	s_load_dword s8, s[4:5], 0xac
	s_load_dwordx4 s[0:3], s[4:5], 0x0
	s_add_u32 s34, s4, 0xa0
	s_addc_u32 s35, s5, 0
	s_waitcnt lgkmcnt(0)
	s_and_b32 s8, s8, 0xffff
	v_mad_u64_u32 v[0:1], null, s6, s8, v[0:1]
	v_cmp_gt_i32_e32 vcc_lo, s0, v0
	s_and_saveexec_b32 s0, vcc_lo
	s_cbranch_execz .LBB4_10
; %bb.1:
	s_load_dwordx4 s[8:11], s[4:5], 0x70
	v_sub_nc_u32_e32 v3, 0, v0
	s_waitcnt lgkmcnt(0)
	s_load_dword s9, s[4:5], 0x18
	v_max_i32_e32 v3, v0, v3
	s_abs_i32 s0, s10
	v_cvt_f32_u32_e32 v1, s0
	s_sub_i32 s6, 0, s0
	v_rcp_iflag_f32_e32 v1, v1
	v_mul_f32_e32 v1, 0x4f7ffffe, v1
	v_cvt_u32_f32_e32 v1, v1
	v_mul_lo_u32 v2, s6, v1
	s_clause 0x1
	s_load_dwordx4 s[36:39], s[4:5], 0x20
	s_load_dword s6, s[4:5], 0x30
	v_mul_hi_u32 v2, v1, v2
	v_add_nc_u32_e32 v1, v1, v2
	s_waitcnt lgkmcnt(0)
	s_cmp_lg_u32 s38, s8
	v_mul_hi_u32 v1, v3, v1
	s_mul_i32 s33, s36, s9
	v_mul_lo_u32 v2, v1, s0
	v_sub_nc_u32_e32 v2, v3, v2
	v_add_nc_u32_e32 v3, 1, v1
	v_subrev_nc_u32_e32 v4, s0, v2
	v_cmp_le_u32_e32 vcc_lo, s0, v2
	v_cndmask_b32_e32 v1, v1, v3, vcc_lo
	v_cndmask_b32_e32 v2, v2, v4, vcc_lo
	v_xor_b32_e32 v3, s10, v0
	v_add_nc_u32_e32 v4, 1, v1
	v_cmp_le_u32_e32 vcc_lo, s0, v2
	v_ashrrev_i32_e32 v3, 31, v3
	s_cselect_b32 s0, -1, 0
	s_cmp_lg_u32 s6, s10
	v_cndmask_b32_e32 v1, v1, v4, vcc_lo
	s_cselect_b32 s8, -1, 0
	s_or_b32 s0, s8, s0
	s_cmp_lt_i32 s7, s33
	v_xor_b32_e32 v1, v1, v3
	s_cselect_b32 s15, -1, 0
	s_and_b32 vcc_lo, exec_lo, s0
	v_cndmask_b32_e64 v2, 0, 1, s15
	s_mov_b32 s8, -1
	v_sub_nc_u32_e32 v20, v1, v3
	v_cmp_ne_u32_e64 s0, 1, v2
	v_mul_lo_u32 v1, v20, s10
	v_sub_nc_u32_e32 v21, v0, v1
	s_cbranch_vccz .LBB4_6
; %bb.2:
	s_and_b32 vcc_lo, exec_lo, s0
	s_cbranch_vccnz .LBB4_5
; %bb.3:
	v_cvt_f32_i32_e32 v0, v20
	v_cvt_f32_i32_e32 v1, v21
	s_bitcmp1_b32 s3, 0
	s_clause 0x1
	s_load_dwordx8 s[16:23], s[4:5], 0x38
	s_load_dwordx2 s[42:43], s[4:5], 0x58
	s_cselect_b32 vcc_lo, -1, 0
	v_add_f32_e32 v2, 0.5, v0
	v_add_f32_e32 v3, 0.5, v1
	v_mul_f32_e32 v0, s1, v0
	v_mul_f32_e32 v1, s2, v1
	s_add_i32 s6, s6, -1
	v_fma_f32 v2, s1, v2, -0.5
	v_fma_f32 v3, s2, v3, -0.5
	s_mov_b32 s1, 0x3fa00000
	s_mov_b32 s0, 0xbf400000
	s_load_dwordx8 s[24:31], s[4:5], 0x80
	v_cndmask_b32_e32 v14, v2, v0, vcc_lo
	v_cndmask_b32_e32 v0, v3, v1, vcc_lo
	s_add_i32 s2, s38, -1
	s_load_dwordx2 s[40:41], s[4:5], 0x10
	v_floor_f32_e32 v2, v14
	v_floor_f32_e32 v1, v0
	v_cvt_i32_f32_e32 v15, v2
	v_cvt_i32_f32_e32 v1, v1
	v_add_nc_u32_e32 v2, -1, v1
	v_cvt_f32_i32_e32 v3, v1
	v_min_i32_e32 v4, s6, v1
	v_add_nc_u32_e32 v5, 1, v1
	v_add_nc_u32_e32 v1, 2, v1
	v_min_i32_e32 v2, s6, v2
	v_sub_f32_e32 v16, v0, v3
	v_max_i32_e32 v10, 0, v4
	v_min_i32_e32 v0, s6, v5
	v_min_i32_e32 v1, s6, v1
	v_max_i32_e32 v12, 0, v2
	v_add_f32_e32 v18, 1.0, v16
	s_waitcnt lgkmcnt(0)
	v_mad_u64_u32 v[4:5], null, s22, v10, 0
	v_max_i32_e32 v13, 0, v0
	v_mad_u64_u32 v[2:3], null, s22, v12, 0
	v_max_i32_e32 v17, 0, v1
	v_fmaak_f32 v19, s0, v18, 0x40700000
	v_mad_u64_u32 v[6:7], null, s22, v13, 0
	v_mov_b32_e32 v0, v5
	v_mad_u64_u32 v[8:9], null, s22, v17, 0
	v_mov_b32_e32 v1, v3
	v_cvt_f32_i32_e32 v5, v15
	v_mul_lo_u32 v30, s29, v20
	v_mul_lo_u32 v32, s31, v21
	s_abs_i32 s22, s36
	v_mad_u64_u32 v[10:11], null, s23, v10, v[0:1]
	v_mov_b32_e32 v0, v7
	v_mov_b32_e32 v3, v9
	v_mad_u64_u32 v[11:12], null, s23, v12, v[1:2]
	s_mov_b32 s29, s7
	v_mad_u64_u32 v[0:1], null, s23, v13, v[0:1]
	v_mad_u64_u32 v[12:13], null, s23, v17, v[3:4]
	v_sub_f32_e32 v13, v14, v5
	v_sub_f32_e32 v14, 1.0, v16
	v_mov_b32_e32 v5, v10
	v_mov_b32_e32 v3, v11
	;; [unrolled: 1-line block ×3, first 2 shown]
	v_fmaak_f32 v0, s1, v16, 0xc0100000
	v_add_f32_e32 v10, 1.0, v14
	v_fmaak_f32 v11, s1, v14, 0xc0100000
	v_mov_b32_e32 v9, v12
	v_sub_f32_e32 v28, 1.0, v13
	v_mul_f32_e32 v0, v16, v0
	v_fmaak_f32 v12, s0, v10, 0x40700000
	v_mul_f32_e32 v11, v14, v11
	v_add_f32_e32 v26, 1.0, v13
	v_fmaak_f32 v17, v18, v19, 0xc0c00000
	v_fma_f32 v23, v16, v0, 1.0
	v_fmaak_f32 v0, v10, v12, 0xc0c00000
	v_fma_f32 v24, v14, v11, 1.0
	v_add_f32_e32 v11, 1.0, v28
	v_fmaak_f32 v12, s0, v26, 0x40700000
	v_fmaak_f32 v22, v18, v17, 0x40400000
	;; [unrolled: 1-line block ×3, first 2 shown]
	v_ashrrev_i32_e32 v16, 31, v20
	v_fmaak_f32 v10, s0, v11, 0x40700000
	v_fmaak_f32 v12, v26, v12, 0xc0c00000
	v_ashrrev_i32_e32 v18, 31, v21
	v_fmaak_f32 v14, s1, v13, 0xc0100000
	v_add_nc_u32_e32 v1, -1, v15
	v_fmaak_f32 v10, v11, v10, 0xc0c00000
	v_fmaak_f32 v26, v26, v12, 0x40400000
	v_add_nc_u32_e32 v12, 2, v15
	v_mul_lo_u32 v31, s28, v16
	v_mad_u64_u32 v[16:17], null, s28, v20, 0
	v_fmaak_f32 v29, v11, v10, 0x40400000
	v_add_nc_u32_e32 v10, 1, v15
	v_mul_lo_u32 v33, s30, v18
	v_mad_u64_u32 v[18:19], null, s30, v21, 0
	v_mul_f32_e32 v14, v13, v14
	v_fmaak_f32 v0, s1, v28, 0xc0100000
	v_min_i32_e32 v1, s2, v1
	v_min_i32_e32 v10, s2, v10
	;; [unrolled: 1-line block ×4, first 2 shown]
	v_fma_f32 v27, v13, v14, 1.0
	v_cvt_f32_u32_e32 v13, s22
	v_mul_f32_e32 v0, v28, v0
	v_add3_u32 v17, v17, v31, v30
	v_max_i32_e32 v30, 0, v1
	v_add3_u32 v19, v19, v33, v32
	v_max_i32_e32 v33, 0, v10
	v_max_i32_e32 v32, 0, v11
	;; [unrolled: 1-line block ×3, first 2 shown]
	v_rcp_iflag_f32_e32 v34, v13
	v_fma_f32 v28, v28, v0, 1.0
	v_mad_u64_u32 v[0:1], null, s20, v30, 0
	v_mad_u64_u32 v[12:13], null, s20, v33, 0
	;; [unrolled: 1-line block ×5, first 2 shown]
	v_mov_b32_e32 v1, v13
	v_mul_f32_e32 v34, 0x4f7ffffe, v34
	v_mad_u64_u32 v[31:32], null, s21, v32, v[11:12]
	v_mov_b32_e32 v11, v15
	v_mad_u64_u32 v[32:33], null, s21, v33, v[1:2]
	s_load_dword s20, s[34:35], 0x8
	v_cvt_u32_f32_e32 v13, v34
	v_mad_u64_u32 v[33:34], null, s21, v35, v[11:12]
	v_mov_b32_e32 v1, v30
	v_mov_b32_e32 v11, v31
	v_readfirstlane_b32 s0, v13
	v_mov_b32_e32 v13, v32
	s_sub_i32 s1, 0, s22
	v_lshlrev_b64 v[0:1], 1, v[0:1]
	v_mov_b32_e32 v15, v33
	s_mul_i32 s1, s1, s0
	v_lshlrev_b64 v[2:3], 1, v[2:3]
	v_lshlrev_b64 v[4:5], 1, v[4:5]
	;; [unrolled: 1-line block ×9, first 2 shown]
	s_mul_hi_u32 s1, s0, s1
	s_ashr_i32 s21, s36, 31
	s_add_i32 s23, s0, s1
	s_sub_i32 s28, 0, s36
.LBB4_4:                                ; =>This Inner Loop Header: Depth=1
	s_abs_i32 s0, s29
	s_ashr_i32 s1, s29, 31
	s_mul_hi_u32 s2, s0, s23
	s_xor_b32 s1, s1, s21
	s_mul_i32 s3, s2, s22
	s_add_i32 s6, s2, 1
	s_sub_i32 s0, s0, s3
	s_sub_i32 s3, s0, s22
	s_cmp_ge_u32 s0, s22
	s_cselect_b32 s2, s6, s2
	s_cselect_b32 s0, s3, s0
	s_add_i32 s3, s2, 1
	s_cmp_ge_u32 s0, s22
	s_cselect_b32 s0, s3, s2
	s_xor_b32 s0, s0, s1
	s_sub_i32 s30, s0, s1
	s_ashr_i32 s31, s30, 31
	s_mul_i32 s1, s28, s30
	s_mul_hi_u32 s2, s16, s30
	s_mul_i32 s6, s16, s31
	s_mul_i32 s3, s17, s30
	s_add_i32 s37, s29, s1
	s_add_i32 s1, s2, s6
	s_mul_i32 s0, s16, s30
	s_add_i32 s1, s1, s3
	s_mul_hi_u32 s6, s18, s37
	s_lshl_b64 s[0:1], s[0:1], 1
	s_mul_i32 s8, s19, s37
	s_add_u32 s9, s40, s0
	s_addc_u32 s10, s41, s1
	s_ashr_i32 s38, s37, 31
	s_mul_i32 s2, s18, s37
	s_mul_i32 s0, s18, s38
	s_add_i32 s0, s6, s0
	s_add_i32 s3, s0, s8
	s_lshl_b64 s[0:1], s[2:3], 1
	s_add_u32 s2, s9, s0
	s_addc_u32 s3, s10, s1
	v_add_co_u32 v37, vcc_lo, s2, v10
	v_add_co_u32 v31, s0, s2, v12
	v_add_co_u32 v39, s1, s2, v14
	;; [unrolled: 1-line block ×3, first 2 shown]
	v_add_co_ci_u32_e64 v35, null, s3, v1, s2
	v_add_co_ci_u32_e64 v55, null, s3, v11, vcc_lo
	v_add_co_u32 v30, vcc_lo, v33, v4
	v_add_co_u32 v52, s14, v33, v2
	v_add_co_u32 v41, s8, v31, v2
	v_add_co_u32 v43, s9, v31, v4
	v_add_co_u32 v45, s10, v31, v6
	v_add_co_u32 v47, s11, v31, v8
	v_add_co_ci_u32_e64 v53, null, v35, v3, s14
	v_add_co_ci_u32_e64 v31, null, v35, v5, vcc_lo
	v_add_co_ci_u32_e64 v48, null, s3, v13, s0
	v_add_co_u32 v32, s0, v33, v6
	v_add_co_ci_u32_e64 v57, null, s3, v15, s1
	v_add_co_u32 v34, s1, v33, v8
	s_clause 0x1
	global_load_ushort v53, v[52:53], off
	global_load_ushort v58, v[30:31], off
	v_add_co_u32 v36, s2, v37, v4
	v_add_co_ci_u32_e64 v33, null, v35, v7, s0
	v_add_co_ci_u32_e64 v35, null, v35, v9, s1
	v_add_co_u32 v30, s1, v37, v2
	v_add_co_u32 v38, s3, v37, v6
	;; [unrolled: 1-line block ×3, first 2 shown]
	v_add_co_ci_u32_e64 v37, null, v55, v5, s2
	v_add_co_ci_u32_e64 v31, null, v55, v3, s1
	s_clause 0x3
	global_load_ushort v32, v[32:33], off
	global_load_ushort v33, v[34:35], off
	global_load_ushort v34, v[36:37], off
	global_load_ushort v30, v[30:31], off
	v_add_co_u32 v51, s13, v39, v4
	v_add_co_ci_u32_e64 v44, null, v48, v5, s9
	v_add_co_ci_u32_e64 v42, null, v48, v3, s8
	;; [unrolled: 1-line block ×3, first 2 shown]
	v_add_co_u32 v49, s12, v39, v2
	v_add_co_ci_u32_e64 v46, null, v48, v7, s10
	v_add_co_ci_u32_e64 v48, null, v48, v9, s11
	v_add_co_u32 v54, vcc_lo, v39, v6
	v_add_co_u32 v56, s0, v39, v8
	v_add_co_ci_u32_e64 v39, null, v55, v7, s3
	v_add_co_ci_u32_e64 v50, null, v57, v3, s12
	s_clause 0x5
	global_load_ushort v31, v[43:44], off
	global_load_ushort v35, v[41:42], off
	;; [unrolled: 1-line block ×6, first 2 shown]
	v_add_co_ci_u32_e64 v41, null, v55, v9, s6
	global_load_ushort v38, v[38:39], off
	v_add_co_ci_u32_e64 v55, null, v57, v7, vcc_lo
	global_load_ushort v39, v[40:41], off
	v_add_co_ci_u32_e64 v57, null, v57, v9, s0
	s_clause 0x1
	global_load_ushort v40, v[54:55], off
	global_load_ushort v41, v[56:57], off
	s_mul_hi_u32 s1, s24, s30
	s_mul_i32 s6, s24, s31
	s_mul_i32 s3, s25, s30
	s_add_i32 s1, s1, s6
	s_mul_i32 s0, s24, s30
	s_add_i32 s1, s1, s3
	s_mul_hi_u32 s8, s26, s37
	s_lshl_b64 s[0:1], s[0:1], 1
	s_mul_i32 s10, s26, s38
	s_add_u32 s6, s42, s0
	s_mul_i32 s9, s27, s37
	s_addc_u32 s11, s43, s1
	s_add_i32 s0, s8, s10
	s_mul_i32 s2, s26, s37
	s_add_i32 s3, s0, s9
	s_lshl_b64 s[0:1], s[2:3], 1
	s_add_u32 s0, s6, s0
	s_addc_u32 s1, s11, s1
	s_waitcnt lgkmcnt(0)
	s_add_i32 s29, s29, s20
	s_cmp_lt_i32 s29, s33
	s_waitcnt vmcnt(14)
	v_cvt_f32_f16_e32 v44, v58
	v_mul_f32_e32 v44, v23, v44
	v_fma_mix_f32 v44, v22, v53, v44 op_sel_hi:[0,1,0]
	s_waitcnt vmcnt(13)
	v_fma_mix_f32 v32, v24, v32, v44 op_sel_hi:[0,1,0]
	s_waitcnt vmcnt(11)
	v_cvt_f32_f16_e32 v34, v34
	v_fma_mix_f32 v32, v25, v33, v32 op_sel_hi:[0,1,0]
	v_mul_f32_e32 v34, v23, v34
	v_mul_f32_e32 v32, v26, v32
	s_waitcnt vmcnt(10)
	v_fma_mix_f32 v30, v22, v30, v34 op_sel_hi:[0,1,0]
	s_waitcnt vmcnt(9)
	v_cvt_f32_f16_e32 v31, v31
	s_waitcnt vmcnt(7)
	v_cvt_f32_f16_e32 v36, v36
	v_mul_f32_e32 v31, v23, v31
	v_mul_f32_e32 v34, v23, v36
	s_waitcnt vmcnt(3)
	v_fma_mix_f32 v30, v24, v38, v30 op_sel_hi:[0,1,0]
	v_fma_mix_f32 v31, v22, v35, v31 op_sel_hi:[0,1,0]
	;; [unrolled: 1-line block ×3, first 2 shown]
	s_waitcnt vmcnt(2)
	v_fma_mix_f32 v30, v25, v39, v30 op_sel_hi:[0,1,0]
	v_fma_mix_f32 v31, v24, v37, v31 op_sel_hi:[0,1,0]
	s_waitcnt vmcnt(1)
	v_fma_mix_f32 v33, v24, v40, v33 op_sel_hi:[0,1,0]
	v_fmac_f32_e32 v32, v27, v30
	v_add_co_u32 v30, vcc_lo, s0, v16
	v_fma_mix_f32 v31, v25, v42, v31 op_sel_hi:[0,1,0]
	v_add_co_ci_u32_e64 v34, null, s1, v17, vcc_lo
	s_waitcnt vmcnt(0)
	v_fma_mix_f32 v33, v25, v41, v33 op_sel_hi:[0,1,0]
	v_add_co_u32 v30, vcc_lo, v30, v18
	v_fmac_f32_e32 v32, v28, v31
	v_add_co_ci_u32_e64 v31, null, v34, v19, vcc_lo
	v_fma_mixlo_f16 v32, v29, v33, v32
	global_store_short v[30:31], v32, off
	s_cbranch_scc1 .LBB4_4
.LBB4_5:
	s_mov_b32 s8, 0
.LBB4_6:
	s_andn2_b32 vcc_lo, exec_lo, s8
	s_cbranch_vccnz .LBB4_10
; %bb.7:
	s_andn2_b32 vcc_lo, exec_lo, s15
	s_cbranch_vccnz .LBB4_10
; %bb.8:
	s_abs_i32 s6, s36
	s_load_dwordx8 s[8:15], s[4:5], 0x38
	v_cvt_f32_u32_e32 v0, s6
	s_load_dwordx8 s[16:23], s[4:5], 0x80
	v_ashrrev_i32_e32 v4, 31, v20
	v_ashrrev_i32_e32 v6, 31, v21
	s_load_dwordx2 s[0:1], s[4:5], 0x10
	v_rcp_iflag_f32_e32 v0, v0
	s_load_dwordx2 s[2:3], s[4:5], 0x58
	s_load_dword s4, s[34:35], 0x8
	s_sub_i32 s5, 0, s6
	v_mul_f32_e32 v7, 0x4f7ffffe, v0
	s_waitcnt lgkmcnt(0)
	v_mul_lo_u32 v8, s13, v20
	v_mul_lo_u32 v9, s12, v4
	v_mad_u64_u32 v[0:1], null, s12, v20, 0
	v_mul_lo_u32 v10, s15, v21
	v_mul_lo_u32 v11, s14, v6
	v_mad_u64_u32 v[2:3], null, s14, v21, 0
	;; [unrolled: 3-line block ×3, first 2 shown]
	v_mul_lo_u32 v14, s23, v21
	v_mul_lo_u32 v15, s22, v6
	v_cvt_u32_f32_e32 v16, v7
	v_mad_u64_u32 v[6:7], null, s22, v21, 0
	v_add3_u32 v1, v1, v9, v8
	v_add3_u32 v3, v3, v11, v10
	v_readfirstlane_b32 s12, v16
	v_add3_u32 v5, v5, v13, v12
	v_lshlrev_b64 v[0:1], 1, v[0:1]
	v_add3_u32 v7, v7, v15, v14
	s_mul_i32 s5, s5, s12
	v_lshlrev_b64 v[2:3], 1, v[2:3]
	v_lshlrev_b64 v[4:5], 1, v[4:5]
	s_mul_hi_u32 s13, s12, s5
	v_lshlrev_b64 v[6:7], 1, v[6:7]
	s_ashr_i32 s5, s36, 31
	s_add_i32 s12, s12, s13
	s_sub_i32 s13, 0, s36
.LBB4_9:                                ; =>This Inner Loop Header: Depth=1
	s_abs_i32 s14, s7
	s_ashr_i32 s15, s7, 31
	s_mul_hi_u32 s20, s14, s12
	s_xor_b32 s15, s15, s5
	s_mul_i32 s21, s20, s6
	s_add_i32 s22, s20, 1
	s_sub_i32 s14, s14, s21
	s_sub_i32 s21, s14, s6
	s_cmp_ge_u32 s14, s6
	s_cselect_b32 s20, s22, s20
	s_cselect_b32 s14, s21, s14
	s_add_i32 s21, s20, 1
	s_cmp_ge_u32 s14, s6
	s_cselect_b32 s14, s21, s20
	s_xor_b32 s14, s14, s15
	s_sub_i32 s22, s14, s15
	s_ashr_i32 s23, s22, 31
	s_mul_i32 s15, s13, s22
	s_mul_hi_u32 s20, s8, s22
	s_mul_i32 s24, s8, s23
	s_mul_i32 s21, s9, s22
	s_add_i32 s25, s7, s15
	s_add_i32 s15, s20, s24
	s_mul_i32 s14, s8, s22
	s_add_i32 s15, s15, s21
	s_mul_hi_u32 s24, s10, s25
	s_lshl_b64 s[14:15], s[14:15], 1
	s_mul_i32 s26, s11, s25
	s_add_u32 s27, s0, s14
	s_addc_u32 s28, s1, s15
	s_ashr_i32 s29, s25, 31
	s_mul_i32 s20, s10, s25
	s_mul_i32 s14, s10, s29
	s_add_i32 s14, s24, s14
	s_mul_i32 s24, s19, s25
	s_add_i32 s21, s14, s26
	s_lshl_b64 s[14:15], s[20:21], 1
	s_mul_i32 s21, s17, s22
	s_add_u32 s14, s27, s14
	s_addc_u32 s15, s28, s15
	v_add_co_u32 v8, vcc_lo, s14, v0
	v_add_co_ci_u32_e64 v9, null, s15, v1, vcc_lo
	s_mul_hi_u32 s15, s16, s22
	v_add_co_u32 v8, vcc_lo, v8, v2
	v_add_co_ci_u32_e64 v9, null, v9, v3, vcc_lo
	s_mul_i32 s14, s16, s22
	s_mul_i32 s22, s16, s23
	s_mul_hi_u32 s23, s18, s25
	global_load_ushort v10, v[8:9], off
	s_add_i32 s15, s15, s22
	s_mul_i32 s20, s18, s25
	s_add_i32 s15, s15, s21
	s_mul_i32 s25, s18, s29
	s_lshl_b64 s[14:15], s[14:15], 1
	s_add_u32 s22, s2, s14
	s_addc_u32 s26, s3, s15
	s_add_i32 s14, s23, s25
	s_add_i32 s21, s14, s24
	s_lshl_b64 s[14:15], s[20:21], 1
	s_add_u32 s14, s22, s14
	s_addc_u32 s15, s26, s15
	v_add_co_u32 v8, vcc_lo, s14, v4
	v_add_co_ci_u32_e64 v9, null, s15, v5, vcc_lo
	s_add_i32 s7, s7, s4
	v_add_co_u32 v8, vcc_lo, v8, v6
	v_add_co_ci_u32_e64 v9, null, v9, v7, vcc_lo
	s_cmp_ge_i32 s7, s33
	s_waitcnt vmcnt(0)
	global_store_short v[8:9], v10, off
	s_cbranch_scc0 .LBB4_9
.LBB4_10:
	s_endpgm
	.section	.rodata,"a",@progbits
	.p2align	6, 0x0
	.amdhsa_kernel _ZN2at6native12_GLOBAL__N_137upsample_bicubic2d_out_frame_parallelIN3c104HalfEfEEviT0_S5_bN5torch10headeronly6detail27GenericPackedTensorAccessorINS8_14TensorAccessorINS3_8ArrayRefIlEEKT_Lm3ENS7_16DefaultPtrTraitsElEENS_6detail16IndexBoundsCheckILm4ElEESE_Lm4ESF_lEENS9_INSA_ISC_SD_Lm3ESF_lEESJ_SD_Lm4ESF_lEE
		.amdhsa_group_segment_fixed_size 0
		.amdhsa_private_segment_fixed_size 0
		.amdhsa_kernarg_size 416
		.amdhsa_user_sgpr_count 6
		.amdhsa_user_sgpr_private_segment_buffer 1
		.amdhsa_user_sgpr_dispatch_ptr 0
		.amdhsa_user_sgpr_queue_ptr 0
		.amdhsa_user_sgpr_kernarg_segment_ptr 1
		.amdhsa_user_sgpr_dispatch_id 0
		.amdhsa_user_sgpr_flat_scratch_init 0
		.amdhsa_user_sgpr_private_segment_size 0
		.amdhsa_wavefront_size32 1
		.amdhsa_uses_dynamic_stack 0
		.amdhsa_system_sgpr_private_segment_wavefront_offset 0
		.amdhsa_system_sgpr_workgroup_id_x 1
		.amdhsa_system_sgpr_workgroup_id_y 0
		.amdhsa_system_sgpr_workgroup_id_z 1
		.amdhsa_system_sgpr_workgroup_info 0
		.amdhsa_system_vgpr_workitem_id 0
		.amdhsa_next_free_vgpr 59
		.amdhsa_next_free_sgpr 44
		.amdhsa_reserve_vcc 1
		.amdhsa_reserve_flat_scratch 0
		.amdhsa_float_round_mode_32 0
		.amdhsa_float_round_mode_16_64 0
		.amdhsa_float_denorm_mode_32 3
		.amdhsa_float_denorm_mode_16_64 3
		.amdhsa_dx10_clamp 1
		.amdhsa_ieee_mode 1
		.amdhsa_fp16_overflow 0
		.amdhsa_workgroup_processor_mode 1
		.amdhsa_memory_ordered 1
		.amdhsa_forward_progress 1
		.amdhsa_shared_vgpr_count 0
		.amdhsa_exception_fp_ieee_invalid_op 0
		.amdhsa_exception_fp_denorm_src 0
		.amdhsa_exception_fp_ieee_div_zero 0
		.amdhsa_exception_fp_ieee_overflow 0
		.amdhsa_exception_fp_ieee_underflow 0
		.amdhsa_exception_fp_ieee_inexact 0
		.amdhsa_exception_int_div_zero 0
	.end_amdhsa_kernel
	.section	.text._ZN2at6native12_GLOBAL__N_137upsample_bicubic2d_out_frame_parallelIN3c104HalfEfEEviT0_S5_bN5torch10headeronly6detail27GenericPackedTensorAccessorINS8_14TensorAccessorINS3_8ArrayRefIlEEKT_Lm3ENS7_16DefaultPtrTraitsElEENS_6detail16IndexBoundsCheckILm4ElEESE_Lm4ESF_lEENS9_INSA_ISC_SD_Lm3ESF_lEESJ_SD_Lm4ESF_lEE,"axG",@progbits,_ZN2at6native12_GLOBAL__N_137upsample_bicubic2d_out_frame_parallelIN3c104HalfEfEEviT0_S5_bN5torch10headeronly6detail27GenericPackedTensorAccessorINS8_14TensorAccessorINS3_8ArrayRefIlEEKT_Lm3ENS7_16DefaultPtrTraitsElEENS_6detail16IndexBoundsCheckILm4ElEESE_Lm4ESF_lEENS9_INSA_ISC_SD_Lm3ESF_lEESJ_SD_Lm4ESF_lEE,comdat
.Lfunc_end4:
	.size	_ZN2at6native12_GLOBAL__N_137upsample_bicubic2d_out_frame_parallelIN3c104HalfEfEEviT0_S5_bN5torch10headeronly6detail27GenericPackedTensorAccessorINS8_14TensorAccessorINS3_8ArrayRefIlEEKT_Lm3ENS7_16DefaultPtrTraitsElEENS_6detail16IndexBoundsCheckILm4ElEESE_Lm4ESF_lEENS9_INSA_ISC_SD_Lm3ESF_lEESJ_SD_Lm4ESF_lEE, .Lfunc_end4-_ZN2at6native12_GLOBAL__N_137upsample_bicubic2d_out_frame_parallelIN3c104HalfEfEEviT0_S5_bN5torch10headeronly6detail27GenericPackedTensorAccessorINS8_14TensorAccessorINS3_8ArrayRefIlEEKT_Lm3ENS7_16DefaultPtrTraitsElEENS_6detail16IndexBoundsCheckILm4ElEESE_Lm4ESF_lEENS9_INSA_ISC_SD_Lm3ESF_lEESJ_SD_Lm4ESF_lEE
                                        ; -- End function
	.set _ZN2at6native12_GLOBAL__N_137upsample_bicubic2d_out_frame_parallelIN3c104HalfEfEEviT0_S5_bN5torch10headeronly6detail27GenericPackedTensorAccessorINS8_14TensorAccessorINS3_8ArrayRefIlEEKT_Lm3ENS7_16DefaultPtrTraitsElEENS_6detail16IndexBoundsCheckILm4ElEESE_Lm4ESF_lEENS9_INSA_ISC_SD_Lm3ESF_lEESJ_SD_Lm4ESF_lEE.num_vgpr, 59
	.set _ZN2at6native12_GLOBAL__N_137upsample_bicubic2d_out_frame_parallelIN3c104HalfEfEEviT0_S5_bN5torch10headeronly6detail27GenericPackedTensorAccessorINS8_14TensorAccessorINS3_8ArrayRefIlEEKT_Lm3ENS7_16DefaultPtrTraitsElEENS_6detail16IndexBoundsCheckILm4ElEESE_Lm4ESF_lEENS9_INSA_ISC_SD_Lm3ESF_lEESJ_SD_Lm4ESF_lEE.num_agpr, 0
	.set _ZN2at6native12_GLOBAL__N_137upsample_bicubic2d_out_frame_parallelIN3c104HalfEfEEviT0_S5_bN5torch10headeronly6detail27GenericPackedTensorAccessorINS8_14TensorAccessorINS3_8ArrayRefIlEEKT_Lm3ENS7_16DefaultPtrTraitsElEENS_6detail16IndexBoundsCheckILm4ElEESE_Lm4ESF_lEENS9_INSA_ISC_SD_Lm3ESF_lEESJ_SD_Lm4ESF_lEE.numbered_sgpr, 44
	.set _ZN2at6native12_GLOBAL__N_137upsample_bicubic2d_out_frame_parallelIN3c104HalfEfEEviT0_S5_bN5torch10headeronly6detail27GenericPackedTensorAccessorINS8_14TensorAccessorINS3_8ArrayRefIlEEKT_Lm3ENS7_16DefaultPtrTraitsElEENS_6detail16IndexBoundsCheckILm4ElEESE_Lm4ESF_lEENS9_INSA_ISC_SD_Lm3ESF_lEESJ_SD_Lm4ESF_lEE.num_named_barrier, 0
	.set _ZN2at6native12_GLOBAL__N_137upsample_bicubic2d_out_frame_parallelIN3c104HalfEfEEviT0_S5_bN5torch10headeronly6detail27GenericPackedTensorAccessorINS8_14TensorAccessorINS3_8ArrayRefIlEEKT_Lm3ENS7_16DefaultPtrTraitsElEENS_6detail16IndexBoundsCheckILm4ElEESE_Lm4ESF_lEENS9_INSA_ISC_SD_Lm3ESF_lEESJ_SD_Lm4ESF_lEE.private_seg_size, 0
	.set _ZN2at6native12_GLOBAL__N_137upsample_bicubic2d_out_frame_parallelIN3c104HalfEfEEviT0_S5_bN5torch10headeronly6detail27GenericPackedTensorAccessorINS8_14TensorAccessorINS3_8ArrayRefIlEEKT_Lm3ENS7_16DefaultPtrTraitsElEENS_6detail16IndexBoundsCheckILm4ElEESE_Lm4ESF_lEENS9_INSA_ISC_SD_Lm3ESF_lEESJ_SD_Lm4ESF_lEE.uses_vcc, 1
	.set _ZN2at6native12_GLOBAL__N_137upsample_bicubic2d_out_frame_parallelIN3c104HalfEfEEviT0_S5_bN5torch10headeronly6detail27GenericPackedTensorAccessorINS8_14TensorAccessorINS3_8ArrayRefIlEEKT_Lm3ENS7_16DefaultPtrTraitsElEENS_6detail16IndexBoundsCheckILm4ElEESE_Lm4ESF_lEENS9_INSA_ISC_SD_Lm3ESF_lEESJ_SD_Lm4ESF_lEE.uses_flat_scratch, 0
	.set _ZN2at6native12_GLOBAL__N_137upsample_bicubic2d_out_frame_parallelIN3c104HalfEfEEviT0_S5_bN5torch10headeronly6detail27GenericPackedTensorAccessorINS8_14TensorAccessorINS3_8ArrayRefIlEEKT_Lm3ENS7_16DefaultPtrTraitsElEENS_6detail16IndexBoundsCheckILm4ElEESE_Lm4ESF_lEENS9_INSA_ISC_SD_Lm3ESF_lEESJ_SD_Lm4ESF_lEE.has_dyn_sized_stack, 0
	.set _ZN2at6native12_GLOBAL__N_137upsample_bicubic2d_out_frame_parallelIN3c104HalfEfEEviT0_S5_bN5torch10headeronly6detail27GenericPackedTensorAccessorINS8_14TensorAccessorINS3_8ArrayRefIlEEKT_Lm3ENS7_16DefaultPtrTraitsElEENS_6detail16IndexBoundsCheckILm4ElEESE_Lm4ESF_lEENS9_INSA_ISC_SD_Lm3ESF_lEESJ_SD_Lm4ESF_lEE.has_recursion, 0
	.set _ZN2at6native12_GLOBAL__N_137upsample_bicubic2d_out_frame_parallelIN3c104HalfEfEEviT0_S5_bN5torch10headeronly6detail27GenericPackedTensorAccessorINS8_14TensorAccessorINS3_8ArrayRefIlEEKT_Lm3ENS7_16DefaultPtrTraitsElEENS_6detail16IndexBoundsCheckILm4ElEESE_Lm4ESF_lEENS9_INSA_ISC_SD_Lm3ESF_lEESJ_SD_Lm4ESF_lEE.has_indirect_call, 0
	.section	.AMDGPU.csdata,"",@progbits
; Kernel info:
; codeLenInByte = 2692
; TotalNumSgprs: 46
; NumVgprs: 59
; ScratchSize: 0
; MemoryBound: 0
; FloatMode: 240
; IeeeMode: 1
; LDSByteSize: 0 bytes/workgroup (compile time only)
; SGPRBlocks: 0
; VGPRBlocks: 7
; NumSGPRsForWavesPerEU: 46
; NumVGPRsForWavesPerEU: 59
; Occupancy: 16
; WaveLimiterHint : 1
; COMPUTE_PGM_RSRC2:SCRATCH_EN: 0
; COMPUTE_PGM_RSRC2:USER_SGPR: 6
; COMPUTE_PGM_RSRC2:TRAP_HANDLER: 0
; COMPUTE_PGM_RSRC2:TGID_X_EN: 1
; COMPUTE_PGM_RSRC2:TGID_Y_EN: 0
; COMPUTE_PGM_RSRC2:TGID_Z_EN: 1
; COMPUTE_PGM_RSRC2:TIDIG_COMP_CNT: 0
	.section	.text._ZN2at6native12_GLOBAL__N_128upsample_bicubic2d_out_frameIN3c104HalfEfEEviT0_S5_bN5torch10headeronly6detail27GenericPackedTensorAccessorINS8_14TensorAccessorINS3_8ArrayRefIlEEKT_Lm3ENS7_16DefaultPtrTraitsElEENS_6detail16IndexBoundsCheckILm4ElEESE_Lm4ESF_lEENS9_INSA_ISC_SD_Lm3ESF_lEESJ_SD_Lm4ESF_lEE,"axG",@progbits,_ZN2at6native12_GLOBAL__N_128upsample_bicubic2d_out_frameIN3c104HalfEfEEviT0_S5_bN5torch10headeronly6detail27GenericPackedTensorAccessorINS8_14TensorAccessorINS3_8ArrayRefIlEEKT_Lm3ENS7_16DefaultPtrTraitsElEENS_6detail16IndexBoundsCheckILm4ElEESE_Lm4ESF_lEENS9_INSA_ISC_SD_Lm3ESF_lEESJ_SD_Lm4ESF_lEE,comdat
	.globl	_ZN2at6native12_GLOBAL__N_128upsample_bicubic2d_out_frameIN3c104HalfEfEEviT0_S5_bN5torch10headeronly6detail27GenericPackedTensorAccessorINS8_14TensorAccessorINS3_8ArrayRefIlEEKT_Lm3ENS7_16DefaultPtrTraitsElEENS_6detail16IndexBoundsCheckILm4ElEESE_Lm4ESF_lEENS9_INSA_ISC_SD_Lm3ESF_lEESJ_SD_Lm4ESF_lEE ; -- Begin function _ZN2at6native12_GLOBAL__N_128upsample_bicubic2d_out_frameIN3c104HalfEfEEviT0_S5_bN5torch10headeronly6detail27GenericPackedTensorAccessorINS8_14TensorAccessorINS3_8ArrayRefIlEEKT_Lm3ENS7_16DefaultPtrTraitsElEENS_6detail16IndexBoundsCheckILm4ElEESE_Lm4ESF_lEENS9_INSA_ISC_SD_Lm3ESF_lEESJ_SD_Lm4ESF_lEE
	.p2align	8
	.type	_ZN2at6native12_GLOBAL__N_128upsample_bicubic2d_out_frameIN3c104HalfEfEEviT0_S5_bN5torch10headeronly6detail27GenericPackedTensorAccessorINS8_14TensorAccessorINS3_8ArrayRefIlEEKT_Lm3ENS7_16DefaultPtrTraitsElEENS_6detail16IndexBoundsCheckILm4ElEESE_Lm4ESF_lEENS9_INSA_ISC_SD_Lm3ESF_lEESJ_SD_Lm4ESF_lEE,@function
_ZN2at6native12_GLOBAL__N_128upsample_bicubic2d_out_frameIN3c104HalfEfEEviT0_S5_bN5torch10headeronly6detail27GenericPackedTensorAccessorINS8_14TensorAccessorINS3_8ArrayRefIlEEKT_Lm3ENS7_16DefaultPtrTraitsElEENS_6detail16IndexBoundsCheckILm4ElEESE_Lm4ESF_lEENS9_INSA_ISC_SD_Lm3ESF_lEESJ_SD_Lm4ESF_lEE: ; @_ZN2at6native12_GLOBAL__N_128upsample_bicubic2d_out_frameIN3c104HalfEfEEviT0_S5_bN5torch10headeronly6detail27GenericPackedTensorAccessorINS8_14TensorAccessorINS3_8ArrayRefIlEEKT_Lm3ENS7_16DefaultPtrTraitsElEENS_6detail16IndexBoundsCheckILm4ElEESE_Lm4ESF_lEENS9_INSA_ISC_SD_Lm3ESF_lEESJ_SD_Lm4ESF_lEE
; %bb.0:
	s_clause 0x1
	s_load_dword s7, s[4:5], 0xac
	s_load_dwordx4 s[0:3], s[4:5], 0x0
	s_waitcnt lgkmcnt(0)
	s_and_b32 s7, s7, 0xffff
	v_mad_u64_u32 v[0:1], null, s6, s7, v[0:1]
	v_cmp_gt_i32_e32 vcc_lo, s0, v0
	s_and_saveexec_b32 s0, vcc_lo
	s_cbranch_execz .LBB5_14
; %bb.1:
	s_load_dwordx4 s[16:19], s[4:5], 0x70
	v_sub_nc_u32_e32 v3, 0, v0
	s_load_dwordx8 s[8:15], s[4:5], 0x18
	v_max_i32_e32 v3, v0, v3
	s_waitcnt lgkmcnt(0)
	s_abs_i32 s0, s18
	v_cvt_f32_u32_e32 v1, s0
	s_sub_i32 s6, 0, s0
	s_cmp_lg_u32 s12, s16
	v_rcp_iflag_f32_e32 v1, v1
	v_mul_f32_e32 v1, 0x4f7ffffe, v1
	v_cvt_u32_f32_e32 v1, v1
	v_mul_lo_u32 v2, s6, v1
	v_mul_hi_u32 v2, v1, v2
	v_add_nc_u32_e32 v1, v1, v2
	v_mul_hi_u32 v1, v3, v1
	v_mul_lo_u32 v2, v1, s0
	v_sub_nc_u32_e32 v2, v3, v2
	v_add_nc_u32_e32 v3, 1, v1
	v_subrev_nc_u32_e32 v4, s0, v2
	v_cmp_le_u32_e32 vcc_lo, s0, v2
	v_cndmask_b32_e32 v1, v1, v3, vcc_lo
	v_cndmask_b32_e32 v2, v2, v4, vcc_lo
	v_xor_b32_e32 v3, s18, v0
	v_add_nc_u32_e32 v4, 1, v1
	v_cmp_le_u32_e32 vcc_lo, s0, v2
	v_ashrrev_i32_e32 v3, 31, v3
	s_cselect_b32 s0, -1, 0
	s_cmp_lg_u32 s14, s18
	v_cndmask_b32_e32 v1, v1, v4, vcc_lo
	s_cselect_b32 s6, -1, 0
	s_or_b32 s0, s6, s0
	s_cmp_gt_i32 s8, 0
	v_xor_b32_e32 v1, v1, v3
	s_cselect_b32 s9, -1, 0
	s_and_b32 vcc_lo, exec_lo, s0
	s_mov_b32 s0, -1
	v_sub_nc_u32_e32 v4, v1, v3
	v_mul_lo_u32 v1, v4, s18
	v_sub_nc_u32_e32 v5, v0, v1
	s_cbranch_vccz .LBB5_8
; %bb.2:
	s_andn2_b32 vcc_lo, exec_lo, s9
	s_cbranch_vccnz .LBB5_7
; %bb.3:
	v_cvt_f32_i32_e32 v0, v4
	v_cvt_f32_i32_e32 v1, v5
	s_bitcmp1_b32 s3, 0
	s_mov_b32 s7, 0x3fa00000
	s_cselect_b32 vcc_lo, -1, 0
	v_add_f32_e32 v2, 0.5, v0
	v_add_f32_e32 v3, 0.5, v1
	v_mul_f32_e32 v0, s1, v0
	v_mul_f32_e32 v1, s2, v1
	s_cmp_gt_i32 s10, 0
	v_fma_f32 v2, s1, v2, -0.5
	v_fma_f32 v3, s2, v3, -0.5
	s_cselect_b32 s33, -1, 0
	s_add_i32 s13, s14, -1
	s_load_dwordx8 s[24:31], s[4:5], 0x80
	v_cndmask_b32_e32 v0, v2, v0, vcc_lo
	v_cndmask_b32_e32 v1, v3, v1, vcc_lo
	s_mov_b32 s6, 0xbf400000
	s_clause 0x1
	s_load_dwordx8 s[16:23], s[4:5], 0x38
	s_load_dwordx2 s[2:3], s[4:5], 0x58
	s_add_i32 s12, s12, -1
	v_floor_f32_e32 v2, v0
	v_floor_f32_e32 v3, v1
	s_load_dwordx2 s[0:1], s[4:5], 0x10
	s_mov_b32 s11, 0
	v_cvt_i32_f32_e32 v18, v2
	v_cvt_i32_f32_e32 v2, v3
	v_cvt_f32_i32_e32 v3, v18
	v_cvt_f32_i32_e32 v6, v2
	v_add_nc_u32_e32 v7, -1, v2
	v_add_nc_u32_e32 v9, 1, v2
	v_min_i32_e32 v8, s13, v2
	v_sub_f32_e32 v12, v0, v3
	v_sub_f32_e32 v0, v1, v6
	v_min_i32_e32 v1, s13, v7
	v_add_nc_u32_e32 v2, 2, v2
	v_min_i32_e32 v3, s13, v9
	v_add_f32_e32 v10, 1.0, v12
	v_add_f32_e32 v6, 1.0, v0
	v_max_i32_e32 v21, 0, v1
	v_sub_f32_e32 v1, 1.0, v0
	v_min_i32_e32 v2, s13, v2
	v_max_i32_e32 v28, 0, v3
	v_fmaak_f32 v3, s7, v0, 0xc0100000
	v_max_i32_e32 v20, 0, v8
	v_add_f32_e32 v9, 1.0, v1
	v_max_i32_e32 v29, 0, v2
	v_fmaak_f32 v2, s6, v6, 0x40700000
	v_fmaak_f32 v7, s7, v1, 0xc0100000
	v_mul_f32_e32 v3, v0, v3
	v_fmaak_f32 v13, s6, v9, 0x40700000
	v_fmaak_f32 v8, s6, v10, 0x40700000
	;; [unrolled: 1-line block ×3, first 2 shown]
	v_mul_f32_e32 v14, v1, v7
	v_fma_f32 v7, v0, v3, 1.0
	v_fmaak_f32 v0, v9, v13, 0xc0c00000
	v_sub_f32_e32 v15, 1.0, v12
	v_fmaak_f32 v6, v6, v2, 0x40400000
	v_fmaak_f32 v2, v10, v8, 0xc0c00000
	v_fma_f32 v8, v1, v14, 1.0
	v_fmaak_f32 v1, s7, v12, 0xc0100000
	v_fmaak_f32 v9, v9, v0, 0x40400000
	v_ashrrev_i32_e32 v0, 31, v4
	v_add_nc_u32_e32 v11, -1, v18
	v_add_f32_e32 v16, 1.0, v15
	v_mul_f32_e32 v13, v12, v1
	s_waitcnt lgkmcnt(0)
	v_mul_lo_u32 v17, s29, v4
	v_mul_lo_u32 v19, s28, v0
	v_mad_u64_u32 v[0:1], null, s28, v4, 0
	v_fmaak_f32 v3, s7, v15, 0xc0100000
	v_fmaak_f32 v10, v10, v2, 0x40400000
	v_ashrrev_i32_e32 v2, 31, v5
	v_fmaak_f32 v22, s6, v16, 0x40700000
	v_min_i32_e32 v25, s12, v11
	v_mul_f32_e32 v14, v15, v3
	v_mul_lo_u32 v23, s31, v5
	v_mul_lo_u32 v24, s30, v2
	v_mad_u64_u32 v[2:3], null, s30, v5, 0
	v_fmaak_f32 v22, v16, v22, 0xc0c00000
	v_add3_u32 v1, v1, v19, v17
	v_max_i32_e32 v19, 0, v25
	v_fma_f32 v11, v12, v13, 1.0
	v_fma_f32 v12, v15, v14, 1.0
	v_fmaak_f32 v13, v16, v22, 0x40400000
	v_lshlrev_b64 v[0:1], 1, v[0:1]
	v_mad_u64_u32 v[14:15], null, s20, v19, 0
	v_mad_u64_u32 v[16:17], null, s22, v21, 0
	v_add3_u32 v3, v3, v24, v23
	v_add_co_u32 v22, vcc_lo, s2, v0
	v_add_co_ci_u32_e64 v23, null, s3, v1, vcc_lo
	v_lshlrev_b64 v[0:1], 1, v[2:3]
	v_mov_b32_e32 v2, v15
	v_mov_b32_e32 v3, v17
	v_min_i32_e32 v24, s12, v18
	v_add_nc_u32_e32 v15, 1, v18
	v_add_nc_u32_e32 v25, 2, v18
	v_add_co_u32 v0, vcc_lo, v22, v0
	v_mad_u64_u32 v[17:18], null, s21, v19, v[2:3]
	v_mad_u64_u32 v[18:19], null, s22, v20, 0
	;; [unrolled: 1-line block ×3, first 2 shown]
	v_add_co_ci_u32_e64 v1, null, v23, v1, vcc_lo
	v_max_i32_e32 v30, 0, v24
	v_min_i32_e32 v24, s12, v15
	v_mov_b32_e32 v3, v19
	v_mov_b32_e32 v15, v17
	;; [unrolled: 1-line block ×3, first 2 shown]
	v_mad_u64_u32 v[22:23], null, s22, v29, 0
	v_mad_u64_u32 v[2:3], null, s23, v20, v[3:4]
	;; [unrolled: 1-line block ×3, first 2 shown]
	v_min_i32_e32 v19, s12, v25
	v_mad_u64_u32 v[26:27], null, s20, v30, 0
	v_mov_b32_e32 v3, v23
	v_lshlrev_b64 v[38:39], 1, v[16:17]
	v_max_i32_e32 v32, 0, v19
	v_mov_b32_e32 v19, v2
	v_mov_b32_e32 v2, v21
	v_max_i32_e32 v31, 0, v24
	v_lshlrev_b64 v[24:25], 1, v[14:15]
	v_mad_u64_u32 v[36:37], null, s20, v32, 0
	v_mad_u64_u32 v[16:17], null, s23, v28, v[2:3]
	;; [unrolled: 1-line block ×3, first 2 shown]
	v_mov_b32_e32 v3, v27
	v_mad_u64_u32 v[28:29], null, s20, v31, 0
	v_lshlrev_b64 v[40:41], 1, v[18:19]
	v_mov_b32_e32 v21, v16
	v_add_co_u32 v14, vcc_lo, v24, v38
	v_mov_b32_e32 v23, v2
	v_mad_u64_u32 v[2:3], null, s21, v30, v[3:4]
	v_lshlrev_b64 v[42:43], 1, v[20:21]
	v_add_co_ci_u32_e64 v15, null, v25, v39, vcc_lo
	v_lshlrev_b64 v[44:45], 1, v[22:23]
	v_mov_b32_e32 v22, v29
	v_add_co_u32 v16, vcc_lo, v40, v24
	v_mov_b32_e32 v27, v2
	v_add_co_ci_u32_e64 v17, null, v41, v25, vcc_lo
	v_add_co_u32 v18, vcc_lo, v24, v42
	v_lshlrev_b64 v[2:3], 1, v[26:27]
	v_mad_u64_u32 v[26:27], null, s21, v31, v[22:23]
	v_add_co_ci_u32_e64 v19, null, v25, v43, vcc_lo
	v_add_co_u32 v20, vcc_lo, v24, v44
	v_add_co_ci_u32_e64 v21, null, v25, v45, vcc_lo
	v_add_co_u32 v22, vcc_lo, v2, v38
	v_mov_b32_e32 v29, v26
	v_add_co_ci_u32_e64 v23, null, v3, v39, vcc_lo
	v_add_co_u32 v24, vcc_lo, v2, v40
	v_mov_b32_e32 v30, v37
	v_add_co_ci_u32_e64 v25, null, v3, v41, vcc_lo
	v_add_co_u32 v26, vcc_lo, v2, v42
	v_add_co_ci_u32_e64 v27, null, v3, v43, vcc_lo
	v_lshlrev_b64 v[46:47], 1, v[28:29]
	v_add_co_u32 v28, vcc_lo, v2, v44
	v_add_co_ci_u32_e64 v29, null, v3, v45, vcc_lo
	v_mad_u64_u32 v[2:3], null, s21, v32, v[30:31]
	v_add_co_u32 v30, vcc_lo, v38, v46
	v_add_co_ci_u32_e64 v31, null, v39, v47, vcc_lo
	v_add_co_u32 v32, vcc_lo, v40, v46
	v_mov_b32_e32 v37, v2
	v_add_co_ci_u32_e64 v33, null, v41, v47, vcc_lo
	v_add_co_u32 v34, vcc_lo, v46, v42
	v_lshlrev_b64 v[2:3], 1, v[36:37]
	v_add_co_ci_u32_e64 v35, null, v47, v43, vcc_lo
	v_add_co_u32 v36, vcc_lo, v44, v46
	v_add_co_ci_u32_e64 v37, null, v45, v47, vcc_lo
	v_add_co_u32 v38, vcc_lo, v38, v2
	;; [unrolled: 2-line block ×5, first 2 shown]
	v_add_co_ci_u32_e64 v45, null, v3, v45, vcc_lo
	s_lshl_b64 s[2:3], s[24:25], 1
	s_lshl_b64 s[6:7], s[26:27], 1
	;; [unrolled: 1-line block ×4, first 2 shown]
	s_branch .LBB5_5
.LBB5_4:                                ;   in Loop: Header=BB5_5 Depth=1
	v_add_co_u32 v0, vcc_lo, v0, s2
	s_add_i32 s11, s11, 1
	v_add_co_ci_u32_e64 v1, null, s3, v1, vcc_lo
	s_add_u32 s0, s0, s12
	s_addc_u32 s1, s1, s13
	s_cmp_lg_u32 s11, s8
	s_cbranch_scc0 .LBB5_7
.LBB5_5:                                ; =>This Loop Header: Depth=1
                                        ;     Child Loop BB5_6 Depth 2
	v_mov_b32_e32 v3, v1
	v_mov_b32_e32 v2, v0
	s_andn2_b32 vcc_lo, exec_lo, s33
	s_mov_b64 s[16:17], s[0:1]
	s_mov_b32 s18, s10
	s_cbranch_vccnz .LBB5_4
.LBB5_6:                                ;   Parent Loop BB5_5 Depth=1
                                        ; =>  This Inner Loop Header: Depth=2
	v_add_co_u32 v46, vcc_lo, s16, v14
	v_add_co_ci_u32_e64 v47, null, s17, v15, vcc_lo
	v_add_co_u32 v48, vcc_lo, s16, v16
	v_add_co_ci_u32_e64 v49, null, s17, v17, vcc_lo
	v_add_co_u32 v50, vcc_lo, s16, v18
	v_add_co_ci_u32_e64 v51, null, s17, v19, vcc_lo
	v_add_co_u32 v52, vcc_lo, s16, v20
	v_add_co_ci_u32_e64 v53, null, s17, v21, vcc_lo
	v_add_co_u32 v54, vcc_lo, s16, v22
	v_add_co_ci_u32_e64 v55, null, s17, v23, vcc_lo
	v_add_co_u32 v56, vcc_lo, s16, v24
	v_add_co_ci_u32_e64 v57, null, s17, v25, vcc_lo
	v_add_co_u32 v58, vcc_lo, s16, v26
	s_clause 0x1
	global_load_ushort v64, v[46:47], off
	global_load_ushort v65, v[48:49], off
	v_add_co_ci_u32_e64 v59, null, s17, v27, vcc_lo
	v_add_co_u32 v60, vcc_lo, s16, v30
	v_add_co_ci_u32_e64 v61, null, s17, v31, vcc_lo
	v_add_co_u32 v62, vcc_lo, s16, v32
	;; [unrolled: 2-line block ×3, first 2 shown]
	s_clause 0x3
	global_load_ushort v66, v[50:51], off
	global_load_ushort v67, v[52:53], off
	;; [unrolled: 1-line block ×4, first 2 shown]
	v_add_co_ci_u32_e64 v47, null, s17, v41, vcc_lo
	v_add_co_u32 v48, vcc_lo, s16, v34
	v_add_co_ci_u32_e64 v49, null, s17, v35, vcc_lo
	v_add_co_u32 v50, vcc_lo, s16, v38
	v_add_co_ci_u32_e64 v51, null, s17, v39, vcc_lo
	s_clause 0x1
	global_load_ushort v56, v[58:59], off
	global_load_ushort v57, v[60:61], off
	v_add_co_u32 v52, vcc_lo, s16, v42
	s_clause 0x1
	global_load_ushort v58, v[62:63], off
	global_load_ushort v59, v[46:47], off
	v_add_co_ci_u32_e64 v53, null, s17, v43, vcc_lo
	v_add_co_u32 v46, vcc_lo, s16, v44
	v_add_co_ci_u32_e64 v47, null, s17, v45, vcc_lo
	s_clause 0x1
	global_load_ushort v60, v[48:49], off
	global_load_ushort v52, v[52:53], off
	v_add_co_u32 v48, vcc_lo, s16, v28
	v_add_co_ci_u32_e64 v49, null, s17, v29, vcc_lo
	s_clause 0x1
	global_load_ushort v53, v[46:47], off
	global_load_ushort v50, v[50:51], off
	;; [unrolled: 5-line block ×3, first 2 shown]
	s_add_i32 s18, s18, -1
	s_add_u32 s16, s16, s14
	s_addc_u32 s17, s17, s15
	s_cmp_lg_u32 s18, 0
	s_waitcnt vmcnt(14)
	v_cvt_f32_f16_e32 v47, v65
	v_mul_f32_e32 v47, v7, v47
	v_fma_mix_f32 v47, v6, v64, v47 op_sel_hi:[0,1,0]
	s_waitcnt vmcnt(10)
	v_cvt_f32_f16_e32 v49, v55
	v_fma_mix_f32 v47, v8, v66, v47 op_sel_hi:[0,1,0]
	v_mul_f32_e32 v49, v7, v49
	v_fma_mix_f32 v47, v9, v67, v47 op_sel_hi:[0,1,0]
	v_fma_mix_f32 v49, v6, v54, v49 op_sel_hi:[0,1,0]
	v_mul_f32_e32 v47, v10, v47
	s_waitcnt vmcnt(7)
	v_cvt_f32_f16_e32 v51, v58
	s_waitcnt vmcnt(6)
	v_cvt_f32_f16_e32 v55, v59
	v_fma_mix_f32 v49, v8, v56, v49 op_sel_hi:[0,1,0]
	v_mul_f32_e32 v51, v7, v51
	v_mul_f32_e32 v55, v7, v55
	v_fma_mix_f32 v51, v6, v57, v51 op_sel_hi:[0,1,0]
	s_waitcnt vmcnt(2)
	v_fma_mix_f32 v50, v6, v50, v55 op_sel_hi:[0,1,0]
	v_fma_mix_f32 v51, v8, v60, v51 op_sel_hi:[0,1,0]
	;; [unrolled: 1-line block ×3, first 2 shown]
	s_waitcnt vmcnt(1)
	v_fma_mix_f32 v48, v9, v48, v49 op_sel_hi:[0,1,0]
	s_waitcnt vmcnt(0)
	v_fma_mix_f32 v46, v9, v46, v51 op_sel_hi:[0,1,0]
	v_fma_mix_f32 v49, v9, v53, v50 op_sel_hi:[0,1,0]
	v_fmac_f32_e32 v47, v11, v48
	v_fmac_f32_e32 v47, v12, v46
	v_fma_mixlo_f16 v46, v13, v49, v47
	global_store_short v[2:3], v46, off
	v_add_co_u32 v2, vcc_lo, v2, s6
	v_add_co_ci_u32_e64 v3, null, s7, v3, vcc_lo
	s_cbranch_scc1 .LBB5_6
	s_branch .LBB5_4
.LBB5_7:
	s_mov_b32 s0, 0
.LBB5_8:
	s_andn2_b32 vcc_lo, exec_lo, s0
	s_cbranch_vccnz .LBB5_14
; %bb.9:
	s_andn2_b32 vcc_lo, exec_lo, s9
	s_cbranch_vccnz .LBB5_14
; %bb.10:
	s_clause 0x1
	s_load_dwordx8 s[12:19], s[4:5], 0x38
	s_load_dwordx8 s[20:27], s[4:5], 0x80
	v_ashrrev_i32_e32 v6, 31, v4
	s_clause 0x1
	s_load_dwordx2 s[0:1], s[4:5], 0x10
	s_load_dwordx2 s[2:3], s[4:5], 0x58
	v_ashrrev_i32_e32 v8, 31, v5
	s_cmp_gt_i32 s10, 0
	s_mov_b32 s9, 0
	s_cselect_b32 s11, -1, 0
	s_waitcnt lgkmcnt(0)
	v_mul_lo_u32 v9, s17, v4
	v_mul_lo_u32 v10, s16, v6
	v_mad_u64_u32 v[0:1], null, s16, v4, 0
	v_mul_lo_u32 v13, s25, v4
	v_mul_lo_u32 v14, s24, v6
	v_mad_u64_u32 v[6:7], null, s24, v4, 0
	;; [unrolled: 3-line block ×4, first 2 shown]
	v_add3_u32 v1, v1, v10, v9
	v_add3_u32 v7, v7, v14, v13
	;; [unrolled: 1-line block ×3, first 2 shown]
	s_lshl_b64 s[4:5], s[12:13], 1
	s_lshl_b64 s[6:7], s[14:15], 1
	v_lshlrev_b64 v[0:1], 1, v[0:1]
	v_add3_u32 v5, v5, v8, v15
	v_lshlrev_b64 v[6:7], 1, v[6:7]
	v_lshlrev_b64 v[2:3], 1, v[2:3]
	v_add_co_u32 v0, vcc_lo, s0, v0
	v_lshlrev_b64 v[4:5], 1, v[4:5]
	v_add_co_ci_u32_e64 v1, null, s1, v1, vcc_lo
	v_add_co_u32 v6, vcc_lo, s2, v6
	v_add_co_ci_u32_e64 v7, null, s3, v7, vcc_lo
	v_add_co_u32 v0, vcc_lo, v0, v2
	;; [unrolled: 2-line block ×3, first 2 shown]
	v_add_co_ci_u32_e64 v3, null, v7, v5, vcc_lo
	s_lshl_b64 s[0:1], s[20:21], 1
	s_lshl_b64 s[2:3], s[22:23], 1
	s_inst_prefetch 0x1
	s_branch .LBB5_12
	.p2align	6
.LBB5_11:                               ;   in Loop: Header=BB5_12 Depth=1
	v_add_co_u32 v2, vcc_lo, v2, s0
	v_add_co_ci_u32_e64 v3, null, s1, v3, vcc_lo
	v_add_co_u32 v0, vcc_lo, v0, s4
	v_add_co_ci_u32_e64 v1, null, s5, v1, vcc_lo
	s_add_i32 s9, s9, 1
	s_cmp_eq_u32 s9, s8
	s_cbranch_scc1 .LBB5_14
.LBB5_12:                               ; =>This Loop Header: Depth=1
                                        ;     Child Loop BB5_13 Depth 2
	v_mov_b32_e32 v5, v1
	v_mov_b32_e32 v7, v3
	;; [unrolled: 1-line block ×4, first 2 shown]
	s_andn2_b32 vcc_lo, exec_lo, s11
	s_mov_b32 s12, s10
	s_cbranch_vccnz .LBB5_11
.LBB5_13:                               ;   Parent Loop BB5_12 Depth=1
                                        ; =>  This Inner Loop Header: Depth=2
	global_load_ushort v8, v[4:5], off
	v_add_co_u32 v4, vcc_lo, v4, s6
	v_add_co_ci_u32_e64 v5, null, s7, v5, vcc_lo
	s_add_i32 s12, s12, -1
	s_cmp_eq_u32 s12, 0
	s_waitcnt vmcnt(0)
	global_store_short v[6:7], v8, off
	v_add_co_u32 v6, vcc_lo, v6, s2
	v_add_co_ci_u32_e64 v7, null, s3, v7, vcc_lo
	s_cbranch_scc0 .LBB5_13
	s_branch .LBB5_11
.LBB5_14:
	s_inst_prefetch 0x2
	s_endpgm
	.section	.rodata,"a",@progbits
	.p2align	6, 0x0
	.amdhsa_kernel _ZN2at6native12_GLOBAL__N_128upsample_bicubic2d_out_frameIN3c104HalfEfEEviT0_S5_bN5torch10headeronly6detail27GenericPackedTensorAccessorINS8_14TensorAccessorINS3_8ArrayRefIlEEKT_Lm3ENS7_16DefaultPtrTraitsElEENS_6detail16IndexBoundsCheckILm4ElEESE_Lm4ESF_lEENS9_INSA_ISC_SD_Lm3ESF_lEESJ_SD_Lm4ESF_lEE
		.amdhsa_group_segment_fixed_size 0
		.amdhsa_private_segment_fixed_size 0
		.amdhsa_kernarg_size 416
		.amdhsa_user_sgpr_count 6
		.amdhsa_user_sgpr_private_segment_buffer 1
		.amdhsa_user_sgpr_dispatch_ptr 0
		.amdhsa_user_sgpr_queue_ptr 0
		.amdhsa_user_sgpr_kernarg_segment_ptr 1
		.amdhsa_user_sgpr_dispatch_id 0
		.amdhsa_user_sgpr_flat_scratch_init 0
		.amdhsa_user_sgpr_private_segment_size 0
		.amdhsa_wavefront_size32 1
		.amdhsa_uses_dynamic_stack 0
		.amdhsa_system_sgpr_private_segment_wavefront_offset 0
		.amdhsa_system_sgpr_workgroup_id_x 1
		.amdhsa_system_sgpr_workgroup_id_y 0
		.amdhsa_system_sgpr_workgroup_id_z 0
		.amdhsa_system_sgpr_workgroup_info 0
		.amdhsa_system_vgpr_workitem_id 0
		.amdhsa_next_free_vgpr 68
		.amdhsa_next_free_sgpr 34
		.amdhsa_reserve_vcc 1
		.amdhsa_reserve_flat_scratch 0
		.amdhsa_float_round_mode_32 0
		.amdhsa_float_round_mode_16_64 0
		.amdhsa_float_denorm_mode_32 3
		.amdhsa_float_denorm_mode_16_64 3
		.amdhsa_dx10_clamp 1
		.amdhsa_ieee_mode 1
		.amdhsa_fp16_overflow 0
		.amdhsa_workgroup_processor_mode 1
		.amdhsa_memory_ordered 1
		.amdhsa_forward_progress 1
		.amdhsa_shared_vgpr_count 0
		.amdhsa_exception_fp_ieee_invalid_op 0
		.amdhsa_exception_fp_denorm_src 0
		.amdhsa_exception_fp_ieee_div_zero 0
		.amdhsa_exception_fp_ieee_overflow 0
		.amdhsa_exception_fp_ieee_underflow 0
		.amdhsa_exception_fp_ieee_inexact 0
		.amdhsa_exception_int_div_zero 0
	.end_amdhsa_kernel
	.section	.text._ZN2at6native12_GLOBAL__N_128upsample_bicubic2d_out_frameIN3c104HalfEfEEviT0_S5_bN5torch10headeronly6detail27GenericPackedTensorAccessorINS8_14TensorAccessorINS3_8ArrayRefIlEEKT_Lm3ENS7_16DefaultPtrTraitsElEENS_6detail16IndexBoundsCheckILm4ElEESE_Lm4ESF_lEENS9_INSA_ISC_SD_Lm3ESF_lEESJ_SD_Lm4ESF_lEE,"axG",@progbits,_ZN2at6native12_GLOBAL__N_128upsample_bicubic2d_out_frameIN3c104HalfEfEEviT0_S5_bN5torch10headeronly6detail27GenericPackedTensorAccessorINS8_14TensorAccessorINS3_8ArrayRefIlEEKT_Lm3ENS7_16DefaultPtrTraitsElEENS_6detail16IndexBoundsCheckILm4ElEESE_Lm4ESF_lEENS9_INSA_ISC_SD_Lm3ESF_lEESJ_SD_Lm4ESF_lEE,comdat
.Lfunc_end5:
	.size	_ZN2at6native12_GLOBAL__N_128upsample_bicubic2d_out_frameIN3c104HalfEfEEviT0_S5_bN5torch10headeronly6detail27GenericPackedTensorAccessorINS8_14TensorAccessorINS3_8ArrayRefIlEEKT_Lm3ENS7_16DefaultPtrTraitsElEENS_6detail16IndexBoundsCheckILm4ElEESE_Lm4ESF_lEENS9_INSA_ISC_SD_Lm3ESF_lEESJ_SD_Lm4ESF_lEE, .Lfunc_end5-_ZN2at6native12_GLOBAL__N_128upsample_bicubic2d_out_frameIN3c104HalfEfEEviT0_S5_bN5torch10headeronly6detail27GenericPackedTensorAccessorINS8_14TensorAccessorINS3_8ArrayRefIlEEKT_Lm3ENS7_16DefaultPtrTraitsElEENS_6detail16IndexBoundsCheckILm4ElEESE_Lm4ESF_lEENS9_INSA_ISC_SD_Lm3ESF_lEESJ_SD_Lm4ESF_lEE
                                        ; -- End function
	.set _ZN2at6native12_GLOBAL__N_128upsample_bicubic2d_out_frameIN3c104HalfEfEEviT0_S5_bN5torch10headeronly6detail27GenericPackedTensorAccessorINS8_14TensorAccessorINS3_8ArrayRefIlEEKT_Lm3ENS7_16DefaultPtrTraitsElEENS_6detail16IndexBoundsCheckILm4ElEESE_Lm4ESF_lEENS9_INSA_ISC_SD_Lm3ESF_lEESJ_SD_Lm4ESF_lEE.num_vgpr, 68
	.set _ZN2at6native12_GLOBAL__N_128upsample_bicubic2d_out_frameIN3c104HalfEfEEviT0_S5_bN5torch10headeronly6detail27GenericPackedTensorAccessorINS8_14TensorAccessorINS3_8ArrayRefIlEEKT_Lm3ENS7_16DefaultPtrTraitsElEENS_6detail16IndexBoundsCheckILm4ElEESE_Lm4ESF_lEENS9_INSA_ISC_SD_Lm3ESF_lEESJ_SD_Lm4ESF_lEE.num_agpr, 0
	.set _ZN2at6native12_GLOBAL__N_128upsample_bicubic2d_out_frameIN3c104HalfEfEEviT0_S5_bN5torch10headeronly6detail27GenericPackedTensorAccessorINS8_14TensorAccessorINS3_8ArrayRefIlEEKT_Lm3ENS7_16DefaultPtrTraitsElEENS_6detail16IndexBoundsCheckILm4ElEESE_Lm4ESF_lEENS9_INSA_ISC_SD_Lm3ESF_lEESJ_SD_Lm4ESF_lEE.numbered_sgpr, 34
	.set _ZN2at6native12_GLOBAL__N_128upsample_bicubic2d_out_frameIN3c104HalfEfEEviT0_S5_bN5torch10headeronly6detail27GenericPackedTensorAccessorINS8_14TensorAccessorINS3_8ArrayRefIlEEKT_Lm3ENS7_16DefaultPtrTraitsElEENS_6detail16IndexBoundsCheckILm4ElEESE_Lm4ESF_lEENS9_INSA_ISC_SD_Lm3ESF_lEESJ_SD_Lm4ESF_lEE.num_named_barrier, 0
	.set _ZN2at6native12_GLOBAL__N_128upsample_bicubic2d_out_frameIN3c104HalfEfEEviT0_S5_bN5torch10headeronly6detail27GenericPackedTensorAccessorINS8_14TensorAccessorINS3_8ArrayRefIlEEKT_Lm3ENS7_16DefaultPtrTraitsElEENS_6detail16IndexBoundsCheckILm4ElEESE_Lm4ESF_lEENS9_INSA_ISC_SD_Lm3ESF_lEESJ_SD_Lm4ESF_lEE.private_seg_size, 0
	.set _ZN2at6native12_GLOBAL__N_128upsample_bicubic2d_out_frameIN3c104HalfEfEEviT0_S5_bN5torch10headeronly6detail27GenericPackedTensorAccessorINS8_14TensorAccessorINS3_8ArrayRefIlEEKT_Lm3ENS7_16DefaultPtrTraitsElEENS_6detail16IndexBoundsCheckILm4ElEESE_Lm4ESF_lEENS9_INSA_ISC_SD_Lm3ESF_lEESJ_SD_Lm4ESF_lEE.uses_vcc, 1
	.set _ZN2at6native12_GLOBAL__N_128upsample_bicubic2d_out_frameIN3c104HalfEfEEviT0_S5_bN5torch10headeronly6detail27GenericPackedTensorAccessorINS8_14TensorAccessorINS3_8ArrayRefIlEEKT_Lm3ENS7_16DefaultPtrTraitsElEENS_6detail16IndexBoundsCheckILm4ElEESE_Lm4ESF_lEENS9_INSA_ISC_SD_Lm3ESF_lEESJ_SD_Lm4ESF_lEE.uses_flat_scratch, 0
	.set _ZN2at6native12_GLOBAL__N_128upsample_bicubic2d_out_frameIN3c104HalfEfEEviT0_S5_bN5torch10headeronly6detail27GenericPackedTensorAccessorINS8_14TensorAccessorINS3_8ArrayRefIlEEKT_Lm3ENS7_16DefaultPtrTraitsElEENS_6detail16IndexBoundsCheckILm4ElEESE_Lm4ESF_lEENS9_INSA_ISC_SD_Lm3ESF_lEESJ_SD_Lm4ESF_lEE.has_dyn_sized_stack, 0
	.set _ZN2at6native12_GLOBAL__N_128upsample_bicubic2d_out_frameIN3c104HalfEfEEviT0_S5_bN5torch10headeronly6detail27GenericPackedTensorAccessorINS8_14TensorAccessorINS3_8ArrayRefIlEEKT_Lm3ENS7_16DefaultPtrTraitsElEENS_6detail16IndexBoundsCheckILm4ElEESE_Lm4ESF_lEENS9_INSA_ISC_SD_Lm3ESF_lEESJ_SD_Lm4ESF_lEE.has_recursion, 0
	.set _ZN2at6native12_GLOBAL__N_128upsample_bicubic2d_out_frameIN3c104HalfEfEEviT0_S5_bN5torch10headeronly6detail27GenericPackedTensorAccessorINS8_14TensorAccessorINS3_8ArrayRefIlEEKT_Lm3ENS7_16DefaultPtrTraitsElEENS_6detail16IndexBoundsCheckILm4ElEESE_Lm4ESF_lEENS9_INSA_ISC_SD_Lm3ESF_lEESJ_SD_Lm4ESF_lEE.has_indirect_call, 0
	.section	.AMDGPU.csdata,"",@progbits
; Kernel info:
; codeLenInByte = 2580
; TotalNumSgprs: 36
; NumVgprs: 68
; ScratchSize: 0
; MemoryBound: 0
; FloatMode: 240
; IeeeMode: 1
; LDSByteSize: 0 bytes/workgroup (compile time only)
; SGPRBlocks: 0
; VGPRBlocks: 8
; NumSGPRsForWavesPerEU: 36
; NumVGPRsForWavesPerEU: 68
; Occupancy: 12
; WaveLimiterHint : 1
; COMPUTE_PGM_RSRC2:SCRATCH_EN: 0
; COMPUTE_PGM_RSRC2:USER_SGPR: 6
; COMPUTE_PGM_RSRC2:TRAP_HANDLER: 0
; COMPUTE_PGM_RSRC2:TGID_X_EN: 1
; COMPUTE_PGM_RSRC2:TGID_Y_EN: 0
; COMPUTE_PGM_RSRC2:TGID_Z_EN: 0
; COMPUTE_PGM_RSRC2:TIDIG_COMP_CNT: 0
	.section	.text._ZN2at6native12_GLOBAL__N_137upsample_bicubic2d_out_frame_parallelIN3c108BFloat16EfEEviT0_S5_bN5torch10headeronly6detail27GenericPackedTensorAccessorINS8_14TensorAccessorINS3_8ArrayRefIlEEKT_Lm3ENS7_16DefaultPtrTraitsElEENS_6detail16IndexBoundsCheckILm4ElEESE_Lm4ESF_lEENS9_INSA_ISC_SD_Lm3ESF_lEESJ_SD_Lm4ESF_lEE,"axG",@progbits,_ZN2at6native12_GLOBAL__N_137upsample_bicubic2d_out_frame_parallelIN3c108BFloat16EfEEviT0_S5_bN5torch10headeronly6detail27GenericPackedTensorAccessorINS8_14TensorAccessorINS3_8ArrayRefIlEEKT_Lm3ENS7_16DefaultPtrTraitsElEENS_6detail16IndexBoundsCheckILm4ElEESE_Lm4ESF_lEENS9_INSA_ISC_SD_Lm3ESF_lEESJ_SD_Lm4ESF_lEE,comdat
	.globl	_ZN2at6native12_GLOBAL__N_137upsample_bicubic2d_out_frame_parallelIN3c108BFloat16EfEEviT0_S5_bN5torch10headeronly6detail27GenericPackedTensorAccessorINS8_14TensorAccessorINS3_8ArrayRefIlEEKT_Lm3ENS7_16DefaultPtrTraitsElEENS_6detail16IndexBoundsCheckILm4ElEESE_Lm4ESF_lEENS9_INSA_ISC_SD_Lm3ESF_lEESJ_SD_Lm4ESF_lEE ; -- Begin function _ZN2at6native12_GLOBAL__N_137upsample_bicubic2d_out_frame_parallelIN3c108BFloat16EfEEviT0_S5_bN5torch10headeronly6detail27GenericPackedTensorAccessorINS8_14TensorAccessorINS3_8ArrayRefIlEEKT_Lm3ENS7_16DefaultPtrTraitsElEENS_6detail16IndexBoundsCheckILm4ElEESE_Lm4ESF_lEENS9_INSA_ISC_SD_Lm3ESF_lEESJ_SD_Lm4ESF_lEE
	.p2align	8
	.type	_ZN2at6native12_GLOBAL__N_137upsample_bicubic2d_out_frame_parallelIN3c108BFloat16EfEEviT0_S5_bN5torch10headeronly6detail27GenericPackedTensorAccessorINS8_14TensorAccessorINS3_8ArrayRefIlEEKT_Lm3ENS7_16DefaultPtrTraitsElEENS_6detail16IndexBoundsCheckILm4ElEESE_Lm4ESF_lEENS9_INSA_ISC_SD_Lm3ESF_lEESJ_SD_Lm4ESF_lEE,@function
_ZN2at6native12_GLOBAL__N_137upsample_bicubic2d_out_frame_parallelIN3c108BFloat16EfEEviT0_S5_bN5torch10headeronly6detail27GenericPackedTensorAccessorINS8_14TensorAccessorINS3_8ArrayRefIlEEKT_Lm3ENS7_16DefaultPtrTraitsElEENS_6detail16IndexBoundsCheckILm4ElEESE_Lm4ESF_lEENS9_INSA_ISC_SD_Lm3ESF_lEESJ_SD_Lm4ESF_lEE: ; @_ZN2at6native12_GLOBAL__N_137upsample_bicubic2d_out_frame_parallelIN3c108BFloat16EfEEviT0_S5_bN5torch10headeronly6detail27GenericPackedTensorAccessorINS8_14TensorAccessorINS3_8ArrayRefIlEEKT_Lm3ENS7_16DefaultPtrTraitsElEENS_6detail16IndexBoundsCheckILm4ElEESE_Lm4ESF_lEENS9_INSA_ISC_SD_Lm3ESF_lEESJ_SD_Lm4ESF_lEE
; %bb.0:
	s_clause 0x1
	s_load_dword s8, s[4:5], 0xac
	s_load_dwordx4 s[0:3], s[4:5], 0x0
	s_add_u32 s34, s4, 0xa0
	s_addc_u32 s35, s5, 0
	s_waitcnt lgkmcnt(0)
	s_and_b32 s8, s8, 0xffff
	v_mad_u64_u32 v[0:1], null, s6, s8, v[0:1]
	v_cmp_gt_i32_e32 vcc_lo, s0, v0
	s_and_saveexec_b32 s0, vcc_lo
	s_cbranch_execz .LBB6_10
; %bb.1:
	s_load_dwordx4 s[8:11], s[4:5], 0x70
	v_sub_nc_u32_e32 v3, 0, v0
	s_waitcnt lgkmcnt(0)
	s_load_dword s9, s[4:5], 0x18
	v_max_i32_e32 v3, v0, v3
	s_abs_i32 s0, s10
	v_cvt_f32_u32_e32 v1, s0
	s_sub_i32 s6, 0, s0
	v_rcp_iflag_f32_e32 v1, v1
	v_mul_f32_e32 v1, 0x4f7ffffe, v1
	v_cvt_u32_f32_e32 v1, v1
	v_mul_lo_u32 v2, s6, v1
	s_clause 0x1
	s_load_dwordx4 s[28:31], s[4:5], 0x20
	s_load_dword s6, s[4:5], 0x30
	v_mul_hi_u32 v2, v1, v2
	v_add_nc_u32_e32 v1, v1, v2
	s_waitcnt lgkmcnt(0)
	s_cmp_lg_u32 s30, s8
	v_mul_hi_u32 v1, v3, v1
	s_mul_i32 s29, s28, s9
	v_mul_lo_u32 v2, v1, s0
	v_sub_nc_u32_e32 v2, v3, v2
	v_add_nc_u32_e32 v3, 1, v1
	v_subrev_nc_u32_e32 v4, s0, v2
	v_cmp_le_u32_e32 vcc_lo, s0, v2
	v_cndmask_b32_e32 v1, v1, v3, vcc_lo
	v_cndmask_b32_e32 v2, v2, v4, vcc_lo
	v_xor_b32_e32 v3, s10, v0
	v_add_nc_u32_e32 v4, 1, v1
	v_cmp_le_u32_e32 vcc_lo, s0, v2
	v_ashrrev_i32_e32 v3, 31, v3
	s_cselect_b32 s0, -1, 0
	s_cmp_lg_u32 s6, s10
	v_cndmask_b32_e32 v1, v1, v4, vcc_lo
	s_cselect_b32 s8, -1, 0
	s_or_b32 s0, s8, s0
	s_cmp_lt_i32 s7, s29
	v_xor_b32_e32 v1, v1, v3
	s_cselect_b32 s31, -1, 0
	s_and_b32 vcc_lo, exec_lo, s0
	v_cndmask_b32_e64 v2, 0, 1, s31
	s_mov_b32 s8, -1
	v_sub_nc_u32_e32 v20, v1, v3
	v_cmp_ne_u32_e64 s0, 1, v2
	v_mul_lo_u32 v1, v20, s10
	v_sub_nc_u32_e32 v21, v0, v1
	s_cbranch_vccz .LBB6_6
; %bb.2:
	s_and_b32 vcc_lo, exec_lo, s0
	s_cbranch_vccnz .LBB6_5
; %bb.3:
	v_cvt_f32_i32_e32 v0, v20
	v_cvt_f32_i32_e32 v1, v21
	s_bitcmp1_b32 s3, 0
	s_clause 0x1
	s_load_dwordx8 s[20:27], s[4:5], 0x38
	s_load_dwordx2 s[44:45], s[4:5], 0x58
	s_cselect_b32 vcc_lo, -1, 0
	v_add_f32_e32 v2, 0.5, v0
	v_add_f32_e32 v3, 0.5, v1
	v_mul_f32_e32 v0, s1, v0
	v_mul_f32_e32 v1, s2, v1
	s_add_i32 s6, s6, -1
	v_fma_f32 v2, s1, v2, -0.5
	v_fma_f32 v3, s2, v3, -0.5
	s_mov_b32 s1, 0x3fa00000
	s_load_dwordx8 s[36:43], s[4:5], 0x80
	s_mov_b32 s0, 0xbf400000
	v_cndmask_b32_e32 v14, v2, v0, vcc_lo
	v_cndmask_b32_e32 v0, v3, v1, vcc_lo
	s_add_i32 s2, s30, -1
	s_load_dwordx2 s[18:19], s[4:5], 0x10
	s_sub_i32 s30, 0, s28
	v_floor_f32_e32 v1, v14
	v_floor_f32_e32 v2, v0
	s_mov_b32 s33, s7
	v_cvt_i32_f32_e32 v15, v1
	v_cvt_i32_f32_e32 v1, v2
	v_cvt_f32_i32_e32 v16, v15
	v_add_nc_u32_e32 v2, -1, v1
	v_cvt_f32_i32_e32 v3, v1
	v_min_i32_e32 v4, s6, v1
	v_add_nc_u32_e32 v5, 1, v1
	v_add_nc_u32_e32 v1, 2, v1
	v_min_i32_e32 v2, s6, v2
	v_sub_f32_e32 v18, v0, v3
	v_max_i32_e32 v10, 0, v4
	v_min_i32_e32 v0, s6, v5
	v_min_i32_e32 v1, s6, v1
	v_max_i32_e32 v12, 0, v2
	v_sub_f32_e32 v22, 1.0, v18
	s_waitcnt lgkmcnt(0)
	v_mad_u64_u32 v[4:5], null, s26, v10, 0
	v_max_i32_e32 v13, 0, v0
	v_max_i32_e32 v17, 0, v1
	v_mad_u64_u32 v[2:3], null, s26, v12, 0
	v_add_f32_e32 v19, 1.0, v18
	v_mad_u64_u32 v[6:7], null, s26, v13, 0
	v_mad_u64_u32 v[8:9], null, s26, v17, 0
	v_mov_b32_e32 v0, v5
	v_mov_b32_e32 v1, v3
	s_abs_i32 s26, s28
	v_mul_lo_u32 v35, s43, v21
	v_cvt_f32_u32_e32 v31, s26
	v_mad_u64_u32 v[10:11], null, s27, v10, v[0:1]
	v_mov_b32_e32 v0, v7
	v_mov_b32_e32 v3, v9
	v_mad_u64_u32 v[11:12], null, s27, v12, v[1:2]
	v_rcp_iflag_f32_e32 v37, v31
	v_mad_u64_u32 v[0:1], null, s27, v13, v[0:1]
	v_mad_u64_u32 v[12:13], null, s27, v17, v[3:4]
	v_sub_f32_e32 v13, v14, v16
	v_add_f32_e32 v16, 1.0, v22
	v_mov_b32_e32 v5, v10
	v_mov_b32_e32 v3, v11
	v_fmaak_f32 v10, s1, v22, 0xc0100000
	v_add_f32_e32 v11, 1.0, v13
	v_mov_b32_e32 v9, v12
	v_fmaak_f32 v12, s0, v16, 0x40700000
	v_fmaak_f32 v24, s1, v13, 0xc0100000
	v_mul_f32_e32 v10, v22, v10
	v_fmaak_f32 v17, s0, v11, 0x40700000
	v_sub_f32_e32 v28, 1.0, v13
	v_fmaak_f32 v12, v16, v12, 0xc0c00000
	v_add_nc_u32_e32 v1, -1, v15
	v_fma_f32 v22, v10, v22, 1.0
	v_fmaak_f32 v10, v11, v17, 0xc0c00000
	v_add_f32_e32 v29, 1.0, v28
	v_fmaak_f32 v23, v16, v12, 0x40400000
	v_mul_f32_e32 v12, v13, v24
	v_fmaak_f32 v16, s1, v28, 0xc0100000
	v_fmaak_f32 v24, v11, v10, 0x40400000
	v_ashrrev_i32_e32 v10, 31, v20
	v_mov_b32_e32 v7, v0
	v_fma_f32 v25, v13, v12, 1.0
	v_fmaak_f32 v12, s0, v29, 0x40700000
	v_mul_f32_e32 v11, v28, v16
	v_mul_lo_u32 v13, s41, v20
	v_mul_lo_u32 v10, s40, v10
	v_mad_u64_u32 v[16:17], null, s40, v20, 0
	v_fmaak_f32 v12, v29, v12, 0xc0c00000
	v_fma_f32 v28, v11, v28, 1.0
	v_add_nc_u32_e32 v11, 1, v15
	v_fmaak_f32 v0, s1, v18, 0xc0100000
	v_min_i32_e32 v1, s2, v1
	v_fmaak_f32 v29, v29, v12, 0x40400000
	v_add3_u32 v17, v17, v10, v13
	v_min_i32_e32 v12, s2, v15
	v_add_nc_u32_e32 v13, 2, v15
	v_min_i32_e32 v11, s2, v11
	v_fmaak_f32 v14, s0, v19, 0x40700000
	v_mul_f32_e32 v0, v18, v0
	v_max_i32_e32 v32, 0, v12
	v_min_i32_e32 v12, s2, v13
	v_max_i32_e32 v30, 0, v1
	v_max_i32_e32 v33, 0, v11
	v_fmaak_f32 v14, v19, v14, 0xc0c00000
	v_ashrrev_i32_e32 v10, 31, v21
	v_max_i32_e32 v34, 0, v12
	v_fma_f32 v26, v18, v0, 1.0
	v_mad_u64_u32 v[0:1], null, s24, v30, 0
	v_mad_u64_u32 v[12:13], null, s24, v33, 0
	v_fmaak_f32 v27, v14, v19, 0x40400000
	v_mad_u64_u32 v[14:15], null, s24, v34, 0
	v_mul_lo_u32 v36, s42, v10
	v_mad_u64_u32 v[10:11], null, s24, v32, 0
	v_mad_u64_u32 v[30:31], null, s25, v30, v[1:2]
	v_mov_b32_e32 v1, v13
	v_mov_b32_e32 v13, v15
	s_load_dword s24, s[34:35], 0x8
	v_mad_u64_u32 v[18:19], null, s42, v21, 0
	v_mad_u64_u32 v[31:32], null, s25, v32, v[11:12]
	;; [unrolled: 1-line block ×4, first 2 shown]
	v_mul_f32_e32 v13, 0x4f7ffffe, v37
	v_add3_u32 v19, v19, v36, v35
	v_mov_b32_e32 v1, v30
	v_mov_b32_e32 v11, v31
	s_sub_i32 s1, 0, s26
	v_cvt_u32_f32_e32 v34, v13
	v_mov_b32_e32 v13, v32
	v_mov_b32_e32 v15, v33
	v_lshlrev_b64 v[0:1], 1, v[0:1]
	v_lshlrev_b64 v[2:3], 1, v[2:3]
	v_readfirstlane_b32 s0, v34
	v_lshlrev_b64 v[4:5], 1, v[4:5]
	v_lshlrev_b64 v[6:7], 1, v[6:7]
	;; [unrolled: 1-line block ×4, first 2 shown]
	s_mul_i32 s1, s1, s0
	v_lshlrev_b64 v[12:13], 1, v[12:13]
	v_lshlrev_b64 v[14:15], 1, v[14:15]
	;; [unrolled: 1-line block ×4, first 2 shown]
	v_mov_b32_e32 v30, v23
	v_mov_b32_e32 v31, v23
	;; [unrolled: 1-line block ×6, first 2 shown]
	s_mul_hi_u32 s1, s0, s1
	s_ashr_i32 s25, s28, 31
	s_add_i32 s27, s0, s1
.LBB6_4:                                ; =>This Inner Loop Header: Depth=1
	s_abs_i32 s0, s33
	s_ashr_i32 s1, s33, 31
	s_mul_hi_u32 s2, s0, s27
	s_xor_b32 s1, s1, s25
	s_mul_i32 s3, s2, s26
	s_add_i32 s6, s2, 1
	s_sub_i32 s0, s0, s3
	s_sub_i32 s3, s0, s26
	s_cmp_ge_u32 s0, s26
	s_cselect_b32 s2, s6, s2
	s_cselect_b32 s0, s3, s0
	s_add_i32 s3, s2, 1
	s_cmp_ge_u32 s0, s26
	s_cselect_b32 s0, s3, s2
	s_xor_b32 s0, s0, s1
	s_sub_i32 s41, s0, s1
	s_ashr_i32 s42, s41, 31
	s_mul_i32 s1, s30, s41
	s_mul_hi_u32 s2, s20, s41
	s_mul_i32 s6, s20, s42
	s_mul_i32 s3, s21, s41
	s_add_i32 s40, s33, s1
	s_add_i32 s1, s2, s6
	s_mul_i32 s0, s20, s41
	s_add_i32 s1, s1, s3
	s_mul_hi_u32 s6, s22, s40
	s_lshl_b64 s[0:1], s[0:1], 1
	s_mul_i32 s8, s23, s40
	s_add_u32 s9, s18, s0
	s_addc_u32 s10, s19, s1
	s_ashr_i32 s43, s40, 31
	s_mul_i32 s2, s22, s40
	s_mul_i32 s0, s22, s43
	s_add_i32 s0, s6, s0
	s_add_i32 s3, s0, s8
	s_lshl_b64 s[0:1], s[2:3], 1
	s_add_u32 s2, s9, s0
	s_addc_u32 s3, s10, s1
	v_add_co_u32 v37, vcc_lo, s2, v10
	v_add_co_u32 v39, s0, s2, v12
	v_add_co_u32 v41, s1, s2, v14
	;; [unrolled: 1-line block ×3, first 2 shown]
	v_add_co_ci_u32_e64 v45, null, s3, v1, s2
	v_add_co_ci_u32_e64 v47, null, s3, v11, vcc_lo
	v_add_co_u32 v66, s17, v43, v2
	v_add_co_u32 v36, vcc_lo, v43, v4
	v_add_co_ci_u32_e64 v57, null, s3, v13, s0
	v_add_co_ci_u32_e64 v65, null, s3, v15, s1
	v_add_co_u32 v40, s1, v43, v8
	v_add_co_ci_u32_e64 v67, null, v45, v3, s17
	v_add_co_u32 v42, s2, v37, v4
	v_add_co_u32 v44, s3, v37, v6
	;; [unrolled: 1-line block ×4, first 2 shown]
	v_add_co_ci_u32_e64 v37, null, v45, v5, vcc_lo
	v_add_co_u32 v38, s0, v43, v6
	v_add_co_u32 v58, s13, v41, v2
	;; [unrolled: 1-line block ×5, first 2 shown]
	v_add_co_ci_u32_e64 v41, null, v45, v9, s1
	v_add_co_u32 v50, s9, v39, v2
	v_add_co_u32 v52, s10, v39, v4
	;; [unrolled: 1-line block ×4, first 2 shown]
	v_add_co_ci_u32_e64 v49, null, v47, v3, s8
	v_add_co_ci_u32_e64 v39, null, v45, v7, s0
	;; [unrolled: 1-line block ×13, first 2 shown]
	s_clause 0xf
	global_load_ushort v66, v[66:67], off
	global_load_ushort v36, v[36:37], off
	;; [unrolled: 1-line block ×16, first 2 shown]
	s_mul_hi_u32 s1, s36, s41
	s_mul_i32 s6, s36, s42
	s_mul_i32 s3, s37, s41
	s_add_i32 s1, s1, s6
	s_mul_i32 s0, s36, s41
	s_add_i32 s1, s1, s3
	s_mul_hi_u32 s8, s38, s40
	s_lshl_b64 s[0:1], s[0:1], 1
	s_mul_i32 s10, s38, s43
	s_add_u32 s6, s44, s0
	s_mul_i32 s9, s39, s40
	s_addc_u32 s11, s45, s1
	s_add_i32 s0, s8, s10
	s_mul_i32 s2, s38, s40
	s_add_i32 s3, s0, s9
	s_lshl_b64 s[0:1], s[2:3], 1
	s_add_u32 s0, s6, s0
	s_addc_u32 s1, s11, s1
	s_waitcnt lgkmcnt(0)
	s_add_i32 s33, s33, s24
	s_cmp_lt_i32 s33, s29
	s_waitcnt vmcnt(15)
	v_lshlrev_b32_e32 v51, 16, v66
	s_waitcnt vmcnt(14)
	v_lshlrev_b32_e32 v36, 16, v36
	s_waitcnt vmcnt(13)
	v_lshlrev_b32_e32 v37, 16, v37
	s_waitcnt vmcnt(12)
	v_lshlrev_b32_e32 v40, 16, v40
	s_waitcnt vmcnt(11)
	v_lshlrev_b32_e32 v41, 16, v41
	s_waitcnt vmcnt(10)
	v_lshlrev_b32_e32 v42, 16, v42
	v_mul_f32_e32 v36, v26, v36
	s_waitcnt vmcnt(8)
	v_lshlrev_b32_e32 v38, 16, v38
	s_waitcnt vmcnt(7)
	v_lshlrev_b32_e32 v39, 16, v39
	s_waitcnt vmcnt(6)
	v_lshlrev_b32_e32 v44, 16, v44
	v_mul_f32_e32 v41, v26, v41
	v_fmac_f32_e32 v36, v27, v51
	v_lshlrev_b32_e32 v43, 16, v43
	s_waitcnt vmcnt(5)
	v_lshlrev_b32_e32 v45, 16, v45
	v_mul_f32_e32 v44, v32, v44
	s_waitcnt vmcnt(0)
	v_lshlrev_b32_e32 v50, 16, v50
	v_fmac_f32_e32 v41, v27, v40
	v_fmac_f32_e32 v36, v22, v38
	v_lshlrev_b32_e32 v47, 16, v47
	v_mul_f32_e32 v38, v33, v39
	v_fmac_f32_e32 v44, v27, v50
	v_fmac_f32_e32 v41, v22, v42
	;; [unrolled: 1-line block ×3, first 2 shown]
	v_lshlrev_b32_e32 v46, 16, v46
	v_lshlrev_b32_e32 v49, 16, v49
	v_fmac_f32_e32 v38, v26, v45
	v_fmac_f32_e32 v44, v34, v47
	;; [unrolled: 1-line block ×3, first 2 shown]
	v_mul_f32_e32 v39, v24, v36
	v_lshlrev_b32_e32 v36, 16, v48
	v_fmac_f32_e32 v38, v35, v46
	v_fmac_f32_e32 v44, v30, v49
	v_add_co_u32 v37, vcc_lo, s0, v16
	v_fmac_f32_e32 v39, v25, v41
	v_fmac_f32_e32 v38, v31, v36
	;; [unrolled: 1-line block ×4, first 2 shown]
	v_add_co_ci_u32_e64 v38, null, s1, v17, vcc_lo
	v_bfe_u32 v36, v39, 16, 1
	v_add3_u32 v36, v39, v36, 0x7fff
	v_lshrrev_b32_e32 v40, 16, v36
	v_add_co_u32 v36, vcc_lo, v37, v18
	v_add_co_ci_u32_e64 v37, null, v38, v19, vcc_lo
	v_cmp_o_f32_e32 vcc_lo, v39, v39
	v_cndmask_b32_e32 v38, 0x7fc0, v40, vcc_lo
	global_store_short v[36:37], v38, off
	s_cbranch_scc1 .LBB6_4
.LBB6_5:
	s_mov_b32 s8, 0
.LBB6_6:
	s_andn2_b32 vcc_lo, exec_lo, s8
	s_cbranch_vccnz .LBB6_10
; %bb.7:
	s_andn2_b32 vcc_lo, exec_lo, s31
	s_cbranch_vccnz .LBB6_10
; %bb.8:
	s_abs_i32 s6, s28
	s_load_dwordx8 s[8:15], s[4:5], 0x38
	v_cvt_f32_u32_e32 v0, s6
	s_load_dwordx8 s[16:23], s[4:5], 0x80
	v_ashrrev_i32_e32 v4, 31, v20
	v_ashrrev_i32_e32 v6, 31, v21
	s_load_dwordx2 s[0:1], s[4:5], 0x10
	v_rcp_iflag_f32_e32 v0, v0
	s_load_dwordx2 s[2:3], s[4:5], 0x58
	s_load_dword s4, s[34:35], 0x8
	s_sub_i32 s5, 0, s6
	v_mul_f32_e32 v7, 0x4f7ffffe, v0
	s_waitcnt lgkmcnt(0)
	v_mul_lo_u32 v8, s13, v20
	v_mul_lo_u32 v9, s12, v4
	v_mad_u64_u32 v[0:1], null, s12, v20, 0
	v_mul_lo_u32 v10, s15, v21
	v_mul_lo_u32 v11, s14, v6
	v_mad_u64_u32 v[2:3], null, s14, v21, 0
	;; [unrolled: 3-line block ×3, first 2 shown]
	v_mul_lo_u32 v14, s23, v21
	v_mul_lo_u32 v15, s22, v6
	v_cvt_u32_f32_e32 v16, v7
	v_mad_u64_u32 v[6:7], null, s22, v21, 0
	v_add3_u32 v1, v1, v9, v8
	v_add3_u32 v3, v3, v11, v10
	v_readfirstlane_b32 s12, v16
	v_add3_u32 v5, v5, v13, v12
	v_lshlrev_b64 v[0:1], 1, v[0:1]
	v_add3_u32 v7, v7, v15, v14
	s_mul_i32 s5, s5, s12
	v_lshlrev_b64 v[2:3], 1, v[2:3]
	v_lshlrev_b64 v[4:5], 1, v[4:5]
	s_mul_hi_u32 s13, s12, s5
	v_lshlrev_b64 v[6:7], 1, v[6:7]
	s_ashr_i32 s5, s28, 31
	s_add_i32 s12, s12, s13
	s_sub_i32 s13, 0, s28
.LBB6_9:                                ; =>This Inner Loop Header: Depth=1
	s_abs_i32 s14, s7
	s_ashr_i32 s15, s7, 31
	s_mul_hi_u32 s20, s14, s12
	s_xor_b32 s15, s15, s5
	s_mul_i32 s21, s20, s6
	s_add_i32 s22, s20, 1
	s_sub_i32 s14, s14, s21
	s_sub_i32 s21, s14, s6
	s_cmp_ge_u32 s14, s6
	s_cselect_b32 s20, s22, s20
	s_cselect_b32 s14, s21, s14
	s_add_i32 s21, s20, 1
	s_cmp_ge_u32 s14, s6
	s_cselect_b32 s14, s21, s20
	s_xor_b32 s14, s14, s15
	s_sub_i32 s22, s14, s15
	s_ashr_i32 s23, s22, 31
	s_mul_i32 s15, s13, s22
	s_mul_hi_u32 s20, s8, s22
	s_mul_i32 s24, s8, s23
	s_mul_i32 s21, s9, s22
	s_add_i32 s25, s7, s15
	s_add_i32 s15, s20, s24
	s_mul_i32 s14, s8, s22
	s_add_i32 s15, s15, s21
	s_mul_hi_u32 s24, s10, s25
	s_lshl_b64 s[14:15], s[14:15], 1
	s_mul_i32 s26, s11, s25
	s_add_u32 s27, s0, s14
	s_addc_u32 s28, s1, s15
	s_ashr_i32 s30, s25, 31
	s_mul_i32 s20, s10, s25
	s_mul_i32 s14, s10, s30
	s_add_i32 s14, s24, s14
	s_mul_i32 s24, s19, s25
	s_add_i32 s21, s14, s26
	s_lshl_b64 s[14:15], s[20:21], 1
	s_mul_i32 s21, s17, s22
	s_add_u32 s14, s27, s14
	s_addc_u32 s15, s28, s15
	v_add_co_u32 v8, vcc_lo, s14, v0
	v_add_co_ci_u32_e64 v9, null, s15, v1, vcc_lo
	s_mul_hi_u32 s15, s16, s22
	v_add_co_u32 v8, vcc_lo, v8, v2
	v_add_co_ci_u32_e64 v9, null, v9, v3, vcc_lo
	s_mul_i32 s14, s16, s22
	s_mul_i32 s22, s16, s23
	s_mul_hi_u32 s23, s18, s25
	global_load_ushort v10, v[8:9], off
	s_add_i32 s15, s15, s22
	s_mul_i32 s20, s18, s25
	s_add_i32 s15, s15, s21
	s_mul_i32 s25, s18, s30
	s_lshl_b64 s[14:15], s[14:15], 1
	s_add_u32 s22, s2, s14
	s_addc_u32 s26, s3, s15
	s_add_i32 s14, s23, s25
	s_add_i32 s21, s14, s24
	s_lshl_b64 s[14:15], s[20:21], 1
	s_add_u32 s14, s22, s14
	s_addc_u32 s15, s26, s15
	v_add_co_u32 v8, vcc_lo, s14, v4
	v_add_co_ci_u32_e64 v9, null, s15, v5, vcc_lo
	s_add_i32 s7, s7, s4
	v_add_co_u32 v8, vcc_lo, v8, v6
	v_add_co_ci_u32_e64 v9, null, v9, v7, vcc_lo
	s_cmp_ge_i32 s7, s29
	s_waitcnt vmcnt(0)
	global_store_short v[8:9], v10, off
	s_cbranch_scc0 .LBB6_9
.LBB6_10:
	s_endpgm
	.section	.rodata,"a",@progbits
	.p2align	6, 0x0
	.amdhsa_kernel _ZN2at6native12_GLOBAL__N_137upsample_bicubic2d_out_frame_parallelIN3c108BFloat16EfEEviT0_S5_bN5torch10headeronly6detail27GenericPackedTensorAccessorINS8_14TensorAccessorINS3_8ArrayRefIlEEKT_Lm3ENS7_16DefaultPtrTraitsElEENS_6detail16IndexBoundsCheckILm4ElEESE_Lm4ESF_lEENS9_INSA_ISC_SD_Lm3ESF_lEESJ_SD_Lm4ESF_lEE
		.amdhsa_group_segment_fixed_size 0
		.amdhsa_private_segment_fixed_size 0
		.amdhsa_kernarg_size 416
		.amdhsa_user_sgpr_count 6
		.amdhsa_user_sgpr_private_segment_buffer 1
		.amdhsa_user_sgpr_dispatch_ptr 0
		.amdhsa_user_sgpr_queue_ptr 0
		.amdhsa_user_sgpr_kernarg_segment_ptr 1
		.amdhsa_user_sgpr_dispatch_id 0
		.amdhsa_user_sgpr_flat_scratch_init 0
		.amdhsa_user_sgpr_private_segment_size 0
		.amdhsa_wavefront_size32 1
		.amdhsa_uses_dynamic_stack 0
		.amdhsa_system_sgpr_private_segment_wavefront_offset 0
		.amdhsa_system_sgpr_workgroup_id_x 1
		.amdhsa_system_sgpr_workgroup_id_y 0
		.amdhsa_system_sgpr_workgroup_id_z 1
		.amdhsa_system_sgpr_workgroup_info 0
		.amdhsa_system_vgpr_workitem_id 0
		.amdhsa_next_free_vgpr 68
		.amdhsa_next_free_sgpr 46
		.amdhsa_reserve_vcc 1
		.amdhsa_reserve_flat_scratch 0
		.amdhsa_float_round_mode_32 0
		.amdhsa_float_round_mode_16_64 0
		.amdhsa_float_denorm_mode_32 3
		.amdhsa_float_denorm_mode_16_64 3
		.amdhsa_dx10_clamp 1
		.amdhsa_ieee_mode 1
		.amdhsa_fp16_overflow 0
		.amdhsa_workgroup_processor_mode 1
		.amdhsa_memory_ordered 1
		.amdhsa_forward_progress 1
		.amdhsa_shared_vgpr_count 0
		.amdhsa_exception_fp_ieee_invalid_op 0
		.amdhsa_exception_fp_denorm_src 0
		.amdhsa_exception_fp_ieee_div_zero 0
		.amdhsa_exception_fp_ieee_overflow 0
		.amdhsa_exception_fp_ieee_underflow 0
		.amdhsa_exception_fp_ieee_inexact 0
		.amdhsa_exception_int_div_zero 0
	.end_amdhsa_kernel
	.section	.text._ZN2at6native12_GLOBAL__N_137upsample_bicubic2d_out_frame_parallelIN3c108BFloat16EfEEviT0_S5_bN5torch10headeronly6detail27GenericPackedTensorAccessorINS8_14TensorAccessorINS3_8ArrayRefIlEEKT_Lm3ENS7_16DefaultPtrTraitsElEENS_6detail16IndexBoundsCheckILm4ElEESE_Lm4ESF_lEENS9_INSA_ISC_SD_Lm3ESF_lEESJ_SD_Lm4ESF_lEE,"axG",@progbits,_ZN2at6native12_GLOBAL__N_137upsample_bicubic2d_out_frame_parallelIN3c108BFloat16EfEEviT0_S5_bN5torch10headeronly6detail27GenericPackedTensorAccessorINS8_14TensorAccessorINS3_8ArrayRefIlEEKT_Lm3ENS7_16DefaultPtrTraitsElEENS_6detail16IndexBoundsCheckILm4ElEESE_Lm4ESF_lEENS9_INSA_ISC_SD_Lm3ESF_lEESJ_SD_Lm4ESF_lEE,comdat
.Lfunc_end6:
	.size	_ZN2at6native12_GLOBAL__N_137upsample_bicubic2d_out_frame_parallelIN3c108BFloat16EfEEviT0_S5_bN5torch10headeronly6detail27GenericPackedTensorAccessorINS8_14TensorAccessorINS3_8ArrayRefIlEEKT_Lm3ENS7_16DefaultPtrTraitsElEENS_6detail16IndexBoundsCheckILm4ElEESE_Lm4ESF_lEENS9_INSA_ISC_SD_Lm3ESF_lEESJ_SD_Lm4ESF_lEE, .Lfunc_end6-_ZN2at6native12_GLOBAL__N_137upsample_bicubic2d_out_frame_parallelIN3c108BFloat16EfEEviT0_S5_bN5torch10headeronly6detail27GenericPackedTensorAccessorINS8_14TensorAccessorINS3_8ArrayRefIlEEKT_Lm3ENS7_16DefaultPtrTraitsElEENS_6detail16IndexBoundsCheckILm4ElEESE_Lm4ESF_lEENS9_INSA_ISC_SD_Lm3ESF_lEESJ_SD_Lm4ESF_lEE
                                        ; -- End function
	.set _ZN2at6native12_GLOBAL__N_137upsample_bicubic2d_out_frame_parallelIN3c108BFloat16EfEEviT0_S5_bN5torch10headeronly6detail27GenericPackedTensorAccessorINS8_14TensorAccessorINS3_8ArrayRefIlEEKT_Lm3ENS7_16DefaultPtrTraitsElEENS_6detail16IndexBoundsCheckILm4ElEESE_Lm4ESF_lEENS9_INSA_ISC_SD_Lm3ESF_lEESJ_SD_Lm4ESF_lEE.num_vgpr, 68
	.set _ZN2at6native12_GLOBAL__N_137upsample_bicubic2d_out_frame_parallelIN3c108BFloat16EfEEviT0_S5_bN5torch10headeronly6detail27GenericPackedTensorAccessorINS8_14TensorAccessorINS3_8ArrayRefIlEEKT_Lm3ENS7_16DefaultPtrTraitsElEENS_6detail16IndexBoundsCheckILm4ElEESE_Lm4ESF_lEENS9_INSA_ISC_SD_Lm3ESF_lEESJ_SD_Lm4ESF_lEE.num_agpr, 0
	.set _ZN2at6native12_GLOBAL__N_137upsample_bicubic2d_out_frame_parallelIN3c108BFloat16EfEEviT0_S5_bN5torch10headeronly6detail27GenericPackedTensorAccessorINS8_14TensorAccessorINS3_8ArrayRefIlEEKT_Lm3ENS7_16DefaultPtrTraitsElEENS_6detail16IndexBoundsCheckILm4ElEESE_Lm4ESF_lEENS9_INSA_ISC_SD_Lm3ESF_lEESJ_SD_Lm4ESF_lEE.numbered_sgpr, 46
	.set _ZN2at6native12_GLOBAL__N_137upsample_bicubic2d_out_frame_parallelIN3c108BFloat16EfEEviT0_S5_bN5torch10headeronly6detail27GenericPackedTensorAccessorINS8_14TensorAccessorINS3_8ArrayRefIlEEKT_Lm3ENS7_16DefaultPtrTraitsElEENS_6detail16IndexBoundsCheckILm4ElEESE_Lm4ESF_lEENS9_INSA_ISC_SD_Lm3ESF_lEESJ_SD_Lm4ESF_lEE.num_named_barrier, 0
	.set _ZN2at6native12_GLOBAL__N_137upsample_bicubic2d_out_frame_parallelIN3c108BFloat16EfEEviT0_S5_bN5torch10headeronly6detail27GenericPackedTensorAccessorINS8_14TensorAccessorINS3_8ArrayRefIlEEKT_Lm3ENS7_16DefaultPtrTraitsElEENS_6detail16IndexBoundsCheckILm4ElEESE_Lm4ESF_lEENS9_INSA_ISC_SD_Lm3ESF_lEESJ_SD_Lm4ESF_lEE.private_seg_size, 0
	.set _ZN2at6native12_GLOBAL__N_137upsample_bicubic2d_out_frame_parallelIN3c108BFloat16EfEEviT0_S5_bN5torch10headeronly6detail27GenericPackedTensorAccessorINS8_14TensorAccessorINS3_8ArrayRefIlEEKT_Lm3ENS7_16DefaultPtrTraitsElEENS_6detail16IndexBoundsCheckILm4ElEESE_Lm4ESF_lEENS9_INSA_ISC_SD_Lm3ESF_lEESJ_SD_Lm4ESF_lEE.uses_vcc, 1
	.set _ZN2at6native12_GLOBAL__N_137upsample_bicubic2d_out_frame_parallelIN3c108BFloat16EfEEviT0_S5_bN5torch10headeronly6detail27GenericPackedTensorAccessorINS8_14TensorAccessorINS3_8ArrayRefIlEEKT_Lm3ENS7_16DefaultPtrTraitsElEENS_6detail16IndexBoundsCheckILm4ElEESE_Lm4ESF_lEENS9_INSA_ISC_SD_Lm3ESF_lEESJ_SD_Lm4ESF_lEE.uses_flat_scratch, 0
	.set _ZN2at6native12_GLOBAL__N_137upsample_bicubic2d_out_frame_parallelIN3c108BFloat16EfEEviT0_S5_bN5torch10headeronly6detail27GenericPackedTensorAccessorINS8_14TensorAccessorINS3_8ArrayRefIlEEKT_Lm3ENS7_16DefaultPtrTraitsElEENS_6detail16IndexBoundsCheckILm4ElEESE_Lm4ESF_lEENS9_INSA_ISC_SD_Lm3ESF_lEESJ_SD_Lm4ESF_lEE.has_dyn_sized_stack, 0
	.set _ZN2at6native12_GLOBAL__N_137upsample_bicubic2d_out_frame_parallelIN3c108BFloat16EfEEviT0_S5_bN5torch10headeronly6detail27GenericPackedTensorAccessorINS8_14TensorAccessorINS3_8ArrayRefIlEEKT_Lm3ENS7_16DefaultPtrTraitsElEENS_6detail16IndexBoundsCheckILm4ElEESE_Lm4ESF_lEENS9_INSA_ISC_SD_Lm3ESF_lEESJ_SD_Lm4ESF_lEE.has_recursion, 0
	.set _ZN2at6native12_GLOBAL__N_137upsample_bicubic2d_out_frame_parallelIN3c108BFloat16EfEEviT0_S5_bN5torch10headeronly6detail27GenericPackedTensorAccessorINS8_14TensorAccessorINS3_8ArrayRefIlEEKT_Lm3ENS7_16DefaultPtrTraitsElEENS_6detail16IndexBoundsCheckILm4ElEESE_Lm4ESF_lEENS9_INSA_ISC_SD_Lm3ESF_lEESJ_SD_Lm4ESF_lEE.has_indirect_call, 0
	.section	.AMDGPU.csdata,"",@progbits
; Kernel info:
; codeLenInByte = 2740
; TotalNumSgprs: 48
; NumVgprs: 68
; ScratchSize: 0
; MemoryBound: 0
; FloatMode: 240
; IeeeMode: 1
; LDSByteSize: 0 bytes/workgroup (compile time only)
; SGPRBlocks: 0
; VGPRBlocks: 8
; NumSGPRsForWavesPerEU: 48
; NumVGPRsForWavesPerEU: 68
; Occupancy: 12
; WaveLimiterHint : 1
; COMPUTE_PGM_RSRC2:SCRATCH_EN: 0
; COMPUTE_PGM_RSRC2:USER_SGPR: 6
; COMPUTE_PGM_RSRC2:TRAP_HANDLER: 0
; COMPUTE_PGM_RSRC2:TGID_X_EN: 1
; COMPUTE_PGM_RSRC2:TGID_Y_EN: 0
; COMPUTE_PGM_RSRC2:TGID_Z_EN: 1
; COMPUTE_PGM_RSRC2:TIDIG_COMP_CNT: 0
	.section	.text._ZN2at6native12_GLOBAL__N_128upsample_bicubic2d_out_frameIN3c108BFloat16EfEEviT0_S5_bN5torch10headeronly6detail27GenericPackedTensorAccessorINS8_14TensorAccessorINS3_8ArrayRefIlEEKT_Lm3ENS7_16DefaultPtrTraitsElEENS_6detail16IndexBoundsCheckILm4ElEESE_Lm4ESF_lEENS9_INSA_ISC_SD_Lm3ESF_lEESJ_SD_Lm4ESF_lEE,"axG",@progbits,_ZN2at6native12_GLOBAL__N_128upsample_bicubic2d_out_frameIN3c108BFloat16EfEEviT0_S5_bN5torch10headeronly6detail27GenericPackedTensorAccessorINS8_14TensorAccessorINS3_8ArrayRefIlEEKT_Lm3ENS7_16DefaultPtrTraitsElEENS_6detail16IndexBoundsCheckILm4ElEESE_Lm4ESF_lEENS9_INSA_ISC_SD_Lm3ESF_lEESJ_SD_Lm4ESF_lEE,comdat
	.globl	_ZN2at6native12_GLOBAL__N_128upsample_bicubic2d_out_frameIN3c108BFloat16EfEEviT0_S5_bN5torch10headeronly6detail27GenericPackedTensorAccessorINS8_14TensorAccessorINS3_8ArrayRefIlEEKT_Lm3ENS7_16DefaultPtrTraitsElEENS_6detail16IndexBoundsCheckILm4ElEESE_Lm4ESF_lEENS9_INSA_ISC_SD_Lm3ESF_lEESJ_SD_Lm4ESF_lEE ; -- Begin function _ZN2at6native12_GLOBAL__N_128upsample_bicubic2d_out_frameIN3c108BFloat16EfEEviT0_S5_bN5torch10headeronly6detail27GenericPackedTensorAccessorINS8_14TensorAccessorINS3_8ArrayRefIlEEKT_Lm3ENS7_16DefaultPtrTraitsElEENS_6detail16IndexBoundsCheckILm4ElEESE_Lm4ESF_lEENS9_INSA_ISC_SD_Lm3ESF_lEESJ_SD_Lm4ESF_lEE
	.p2align	8
	.type	_ZN2at6native12_GLOBAL__N_128upsample_bicubic2d_out_frameIN3c108BFloat16EfEEviT0_S5_bN5torch10headeronly6detail27GenericPackedTensorAccessorINS8_14TensorAccessorINS3_8ArrayRefIlEEKT_Lm3ENS7_16DefaultPtrTraitsElEENS_6detail16IndexBoundsCheckILm4ElEESE_Lm4ESF_lEENS9_INSA_ISC_SD_Lm3ESF_lEESJ_SD_Lm4ESF_lEE,@function
_ZN2at6native12_GLOBAL__N_128upsample_bicubic2d_out_frameIN3c108BFloat16EfEEviT0_S5_bN5torch10headeronly6detail27GenericPackedTensorAccessorINS8_14TensorAccessorINS3_8ArrayRefIlEEKT_Lm3ENS7_16DefaultPtrTraitsElEENS_6detail16IndexBoundsCheckILm4ElEESE_Lm4ESF_lEENS9_INSA_ISC_SD_Lm3ESF_lEESJ_SD_Lm4ESF_lEE: ; @_ZN2at6native12_GLOBAL__N_128upsample_bicubic2d_out_frameIN3c108BFloat16EfEEviT0_S5_bN5torch10headeronly6detail27GenericPackedTensorAccessorINS8_14TensorAccessorINS3_8ArrayRefIlEEKT_Lm3ENS7_16DefaultPtrTraitsElEENS_6detail16IndexBoundsCheckILm4ElEESE_Lm4ESF_lEENS9_INSA_ISC_SD_Lm3ESF_lEESJ_SD_Lm4ESF_lEE
; %bb.0:
	s_clause 0x1
	s_load_dword s7, s[4:5], 0xac
	s_load_dwordx4 s[0:3], s[4:5], 0x0
	s_waitcnt lgkmcnt(0)
	s_and_b32 s7, s7, 0xffff
	v_mad_u64_u32 v[0:1], null, s6, s7, v[0:1]
	v_cmp_gt_i32_e32 vcc_lo, s0, v0
	s_and_saveexec_b32 s0, vcc_lo
	s_cbranch_execz .LBB7_14
; %bb.1:
	s_load_dwordx4 s[16:19], s[4:5], 0x70
	v_sub_nc_u32_e32 v3, 0, v0
	s_load_dwordx8 s[8:15], s[4:5], 0x18
	v_max_i32_e32 v3, v0, v3
	s_waitcnt lgkmcnt(0)
	s_abs_i32 s0, s18
	v_cvt_f32_u32_e32 v1, s0
	s_sub_i32 s6, 0, s0
	s_cmp_lg_u32 s12, s16
	v_rcp_iflag_f32_e32 v1, v1
	v_mul_f32_e32 v1, 0x4f7ffffe, v1
	v_cvt_u32_f32_e32 v1, v1
	v_mul_lo_u32 v2, s6, v1
	v_mul_hi_u32 v2, v1, v2
	v_add_nc_u32_e32 v1, v1, v2
	v_mul_hi_u32 v1, v3, v1
	v_mul_lo_u32 v2, v1, s0
	v_sub_nc_u32_e32 v2, v3, v2
	v_add_nc_u32_e32 v3, 1, v1
	v_subrev_nc_u32_e32 v4, s0, v2
	v_cmp_le_u32_e32 vcc_lo, s0, v2
	v_cndmask_b32_e32 v1, v1, v3, vcc_lo
	v_cndmask_b32_e32 v2, v2, v4, vcc_lo
	v_xor_b32_e32 v3, s18, v0
	v_add_nc_u32_e32 v4, 1, v1
	v_cmp_le_u32_e32 vcc_lo, s0, v2
	v_ashrrev_i32_e32 v3, 31, v3
	s_cselect_b32 s0, -1, 0
	s_cmp_lg_u32 s14, s18
	v_cndmask_b32_e32 v1, v1, v4, vcc_lo
	s_cselect_b32 s6, -1, 0
	s_or_b32 s0, s6, s0
	s_cmp_gt_i32 s8, 0
	v_xor_b32_e32 v1, v1, v3
	s_cselect_b32 s9, -1, 0
	s_and_b32 vcc_lo, exec_lo, s0
	s_mov_b32 s0, -1
	v_sub_nc_u32_e32 v4, v1, v3
	v_mul_lo_u32 v1, v4, s18
	v_sub_nc_u32_e32 v5, v0, v1
	s_cbranch_vccz .LBB7_8
; %bb.2:
	s_andn2_b32 vcc_lo, exec_lo, s9
	s_cbranch_vccnz .LBB7_7
; %bb.3:
	v_cvt_f32_i32_e32 v0, v4
	v_cvt_f32_i32_e32 v1, v5
	s_bitcmp1_b32 s3, 0
	s_load_dwordx8 s[24:31], s[4:5], 0x80
	s_cselect_b32 vcc_lo, -1, 0
	v_add_f32_e32 v2, 0.5, v0
	v_add_f32_e32 v3, 0.5, v1
	v_mul_f32_e32 v0, s1, v0
	v_mul_f32_e32 v1, s2, v1
	s_cmp_gt_i32 s10, 0
	v_fma_f32 v2, s1, v2, -0.5
	v_fma_f32 v3, s2, v3, -0.5
	s_cselect_b32 s33, -1, 0
	s_add_i32 s13, s14, -1
	s_mov_b32 s6, 0xbf400000
	v_cndmask_b32_e32 v0, v2, v0, vcc_lo
	v_cndmask_b32_e32 v1, v3, v1, vcc_lo
	s_mov_b32 s7, 0x3fa00000
	s_clause 0x1
	s_load_dwordx8 s[16:23], s[4:5], 0x38
	s_load_dwordx2 s[2:3], s[4:5], 0x58
	v_ashrrev_i32_e32 v22, 31, v5
	v_floor_f32_e32 v2, v0
	v_floor_f32_e32 v3, v1
	s_add_i32 s12, s12, -1
	s_waitcnt lgkmcnt(0)
	v_mul_lo_u32 v20, s29, v4
	v_mul_lo_u32 v24, s31, v5
	v_cvt_i32_f32_e32 v14, v2
	v_cvt_i32_f32_e32 v2, v3
	v_mul_lo_u32 v22, s30, v22
	s_load_dwordx2 s[0:1], s[4:5], 0x10
	s_mov_b32 s11, 0
	v_cvt_f32_i32_e32 v3, v14
	v_cvt_f32_i32_e32 v6, v2
	v_add_nc_u32_e32 v7, -1, v2
	v_add_nc_u32_e32 v9, 1, v2
	v_min_i32_e32 v8, s13, v2
	v_sub_f32_e32 v3, v0, v3
	v_sub_f32_e32 v10, v1, v6
	v_min_i32_e32 v0, s13, v7
	v_min_i32_e32 v1, s13, v9
	v_max_i32_e32 v26, 0, v8
	v_add_nc_u32_e32 v2, 2, v2
	v_sub_f32_e32 v6, 1.0, v10
	v_max_i32_e32 v16, 0, v0
	v_max_i32_e32 v30, 0, v1
	v_add_f32_e32 v1, 1.0, v3
	v_min_i32_e32 v2, s13, v2
	v_add_f32_e32 v0, 1.0, v6
	v_fmaak_f32 v7, s7, v6, 0xc0100000
	v_sub_f32_e32 v13, 1.0, v3
	v_fmaak_f32 v12, s6, v1, 0x40700000
	v_add_f32_e32 v11, 1.0, v10
	v_fmaak_f32 v8, s6, v0, 0x40700000
	v_mul_f32_e32 v7, v6, v7
	v_max_i32_e32 v32, 0, v2
	v_fmaak_f32 v12, v1, v12, 0xc0c00000
	v_fmaak_f32 v2, s7, v10, 0xc0100000
	;; [unrolled: 1-line block ×3, first 2 shown]
	v_fma_f32 v6, v7, v6, 1.0
	v_fmaak_f32 v9, s7, v3, 0xc0100000
	v_add_f32_e32 v19, 1.0, v13
	v_fmaak_f32 v17, s6, v11, 0x40700000
	v_fmaak_f32 v7, v0, v8, 0x40400000
	v_ashrrev_i32_e32 v0, 31, v4
	v_fmaak_f32 v8, v1, v12, 0x40400000
	v_mul_f32_e32 v18, v10, v2
	v_mul_f32_e32 v2, v3, v9
	v_fmaak_f32 v12, s7, v13, 0xc0100000
	v_mul_lo_u32 v21, s28, v0
	v_mad_u64_u32 v[0:1], null, s28, v4, 0
	v_fmaak_f32 v23, s6, v19, 0x40700000
	v_add_nc_u32_e32 v15, -1, v14
	v_fmaak_f32 v17, v11, v17, 0xc0c00000
	v_fma_f32 v9, v3, v2, 1.0
	v_mad_u64_u32 v[2:3], null, s30, v5, 0
	v_add3_u32 v1, v1, v21, v20
	v_mul_f32_e32 v12, v13, v12
	v_fmaak_f32 v20, v19, v23, 0xc0c00000
	v_min_i32_e32 v15, s12, v15
	v_fmaak_f32 v11, v17, v11, 0x40400000
	v_add_nc_u32_e32 v17, 1, v14
	v_lshlrev_b64 v[0:1], 1, v[0:1]
	v_fma_f32 v12, v12, v13, 1.0
	v_fmaak_f32 v13, v19, v20, 0x40400000
	v_mad_u64_u32 v[20:21], null, s22, v16, 0
	v_add3_u32 v3, v3, v22, v24
	v_max_i32_e32 v15, 0, v15
	v_min_i32_e32 v22, s12, v14
	v_min_i32_e32 v17, s12, v17
	v_add_nc_u32_e32 v14, 2, v14
	v_fma_f32 v10, v10, v18, 1.0
	v_add_co_u32 v18, vcc_lo, s2, v0
	v_add_co_ci_u32_e64 v19, null, s3, v1, vcc_lo
	v_lshlrev_b64 v[0:1], 1, v[2:3]
	v_mad_u64_u32 v[2:3], null, s20, v15, 0
	v_max_i32_e32 v33, 0, v22
	v_max_i32_e32 v38, 0, v17
	v_min_i32_e32 v17, s12, v14
	v_mov_b32_e32 v14, v21
	v_mad_u64_u32 v[22:23], null, s22, v26, 0
	v_add_co_u32 v0, vcc_lo, v18, v0
	v_mad_u64_u32 v[24:25], null, s23, v16, v[14:15]
	v_add_co_ci_u32_e64 v1, null, v19, v1, vcc_lo
	v_mad_u64_u32 v[18:19], null, s21, v15, v[3:4]
	v_mov_b32_e32 v19, v23
	v_mad_u64_u32 v[28:29], null, s20, v33, 0
	v_mov_b32_e32 v21, v24
	v_mad_u64_u32 v[34:35], null, s20, v38, 0
	v_mad_u64_u32 v[23:24], null, s23, v26, v[19:20]
	;; [unrolled: 1-line block ×4, first 2 shown]
	v_lshlrev_b64 v[44:45], 1, v[20:21]
	v_mov_b32_e32 v3, v18
	v_lshlrev_b64 v[46:47], 1, v[22:23]
	v_max_i32_e32 v39, 0, v17
	v_mov_b32_e32 v20, v25
	v_mov_b32_e32 v14, v7
	;; [unrolled: 1-line block ×3, first 2 shown]
	v_lshlrev_b64 v[2:3], 1, v[2:3]
	v_mad_u64_u32 v[42:43], null, s20, v39, 0
	v_mov_b32_e32 v15, v7
	v_mad_u64_u32 v[30:31], null, s23, v30, v[20:21]
	v_mad_u64_u32 v[31:32], null, s23, v32, v[21:22]
	v_add_co_u32 v20, vcc_lo, v2, v44
	v_add_co_ci_u32_e64 v21, null, v3, v45, vcc_lo
	v_mov_b32_e32 v25, v30
	v_mad_u64_u32 v[29:30], null, s21, v33, v[29:30]
	v_mov_b32_e32 v27, v31
	v_add_co_u32 v22, vcc_lo, v46, v2
	v_lshlrev_b64 v[48:49], 1, v[24:25]
	v_add_co_ci_u32_e64 v23, null, v47, v3, vcc_lo
	v_lshlrev_b64 v[50:51], 1, v[26:27]
	v_lshlrev_b64 v[36:37], 1, v[28:29]
	v_mov_b32_e32 v28, v35
	v_add_co_u32 v24, vcc_lo, v2, v48
	v_add_co_ci_u32_e64 v25, null, v3, v49, vcc_lo
	v_add_co_u32 v26, vcc_lo, v2, v50
	v_add_co_ci_u32_e64 v27, null, v3, v51, vcc_lo
	v_mad_u64_u32 v[2:3], null, s21, v38, v[28:29]
	v_mov_b32_e32 v38, v43
	v_add_co_u32 v28, vcc_lo, v36, v44
	v_add_co_ci_u32_e64 v29, null, v37, v45, vcc_lo
	v_mad_u64_u32 v[40:41], null, s21, v39, v[38:39]
	v_mov_b32_e32 v35, v2
	v_add_co_u32 v30, vcc_lo, v36, v46
	v_add_co_ci_u32_e64 v31, null, v37, v47, vcc_lo
	v_lshlrev_b64 v[2:3], 1, v[34:35]
	v_add_co_u32 v32, vcc_lo, v36, v48
	v_mov_b32_e32 v43, v40
	v_add_co_ci_u32_e64 v33, null, v37, v49, vcc_lo
	v_add_co_u32 v34, vcc_lo, v36, v50
	v_add_co_ci_u32_e64 v35, null, v37, v51, vcc_lo
	v_add_co_u32 v36, vcc_lo, v44, v2
	;; [unrolled: 2-line block ×3, first 2 shown]
	v_lshlrev_b64 v[52:53], 1, v[42:43]
	v_add_co_ci_u32_e64 v39, null, v47, v3, vcc_lo
	v_add_co_u32 v40, vcc_lo, v2, v48
	v_add_co_ci_u32_e64 v41, null, v3, v49, vcc_lo
	v_add_co_u32 v42, vcc_lo, v50, v2
	;; [unrolled: 2-line block ×6, first 2 shown]
	v_mov_b32_e32 v16, v10
	v_mov_b32_e32 v17, v11
	;; [unrolled: 1-line block ×4, first 2 shown]
	v_add_co_ci_u32_e64 v51, null, v53, v51, vcc_lo
	s_lshl_b64 s[2:3], s[24:25], 1
	s_lshl_b64 s[6:7], s[26:27], 1
	;; [unrolled: 1-line block ×4, first 2 shown]
	s_branch .LBB7_5
.LBB7_4:                                ;   in Loop: Header=BB7_5 Depth=1
	v_add_co_u32 v0, vcc_lo, v0, s2
	s_add_i32 s11, s11, 1
	v_add_co_ci_u32_e64 v1, null, s3, v1, vcc_lo
	s_add_u32 s0, s0, s12
	s_addc_u32 s1, s1, s13
	s_cmp_lg_u32 s11, s8
	s_cbranch_scc0 .LBB7_7
.LBB7_5:                                ; =>This Loop Header: Depth=1
                                        ;     Child Loop BB7_6 Depth 2
	v_mov_b32_e32 v3, v1
	v_mov_b32_e32 v2, v0
	s_andn2_b32 vcc_lo, exec_lo, s33
	s_waitcnt lgkmcnt(0)
	s_mov_b64 s[16:17], s[0:1]
	s_mov_b32 s18, s10
	s_cbranch_vccnz .LBB7_4
.LBB7_6:                                ;   Parent Loop BB7_5 Depth=1
                                        ; =>  This Inner Loop Header: Depth=2
	v_add_co_u32 v52, vcc_lo, s16, v20
	v_add_co_ci_u32_e64 v53, null, s17, v21, vcc_lo
	v_add_co_u32 v54, vcc_lo, s16, v22
	v_add_co_ci_u32_e64 v55, null, s17, v23, vcc_lo
	;; [unrolled: 2-line block ×10, first 2 shown]
	v_add_co_u32 v72, vcc_lo, s16, v32
	s_clause 0x1
	global_load_ushort v80, v[52:53], off
	global_load_ushort v81, v[54:55], off
	v_add_co_ci_u32_e64 v73, null, s17, v33, vcc_lo
	v_add_co_u32 v74, vcc_lo, s16, v48
	v_add_co_ci_u32_e64 v75, null, s17, v49, vcc_lo
	v_add_co_u32 v76, vcc_lo, s16, v40
	s_clause 0x1
	global_load_ushort v60, v[60:61], off
	global_load_ushort v61, v[62:63], off
	v_add_co_ci_u32_e64 v77, null, s17, v41, vcc_lo
	v_add_co_u32 v78, vcc_lo, s16, v34
	v_add_co_ci_u32_e64 v79, null, s17, v35, vcc_lo
	v_add_co_u32 v52, vcc_lo, s16, v42
	;; [unrolled: 2-line block ×3, first 2 shown]
	v_add_co_ci_u32_e64 v55, null, s17, v51, vcc_lo
	s_clause 0xb
	global_load_ushort v62, v[64:65], off
	global_load_ushort v63, v[66:67], off
	;; [unrolled: 1-line block ×12, first 2 shown]
	s_add_i32 s18, s18, -1
	s_add_u32 s16, s16, s14
	s_addc_u32 s17, s17, s15
	s_cmp_lg_u32 s18, 0
	s_waitcnt vmcnt(15)
	v_lshlrev_b32_e32 v67, 16, v80
	s_waitcnt vmcnt(14)
	v_lshlrev_b32_e32 v59, 16, v81
	v_mul_f32_e32 v59, v10, v59
	s_waitcnt vmcnt(13)
	v_lshlrev_b32_e32 v60, 16, v60
	s_waitcnt vmcnt(12)
	v_lshlrev_b32_e32 v61, 16, v61
	v_fmac_f32_e32 v59, v11, v67
	s_waitcnt vmcnt(11)
	v_lshlrev_b32_e32 v62, 16, v62
	v_mul_f32_e32 v61, v10, v61
	s_waitcnt vmcnt(10)
	v_lshlrev_b32_e32 v63, 16, v63
	s_waitcnt vmcnt(9)
	v_lshlrev_b32_e32 v64, 16, v64
	;; [unrolled: 2-line block ×3, first 2 shown]
	v_mul_f32_e32 v62, v16, v62
	v_fmac_f32_e32 v61, v11, v60
	s_waitcnt vmcnt(4)
	v_lshlrev_b32_e32 v53, 16, v53
	s_waitcnt vmcnt(3)
	v_lshlrev_b32_e32 v55, 16, v55
	;; [unrolled: 2-line block ×5, first 2 shown]
	v_fmac_f32_e32 v62, v11, v53
	v_fmac_f32_e32 v59, v6, v55
	v_lshlrev_b32_e32 v52, 16, v52
	v_mul_f32_e32 v63, v17, v63
	v_fmac_f32_e32 v61, v6, v56
	v_fmac_f32_e32 v62, v18, v66
	;; [unrolled: 1-line block ×3, first 2 shown]
	v_lshlrev_b32_e32 v65, 16, v65
	v_fmac_f32_e32 v63, v10, v64
	v_fmac_f32_e32 v61, v7, v58
	;; [unrolled: 1-line block ×3, first 2 shown]
	v_mul_f32_e32 v52, v8, v59
	v_lshlrev_b32_e32 v54, 16, v54
	v_fmac_f32_e32 v63, v19, v65
	v_fmac_f32_e32 v52, v9, v61
	;; [unrolled: 1-line block ×5, first 2 shown]
	v_bfe_u32 v53, v52, 16, 1
	v_cmp_o_f32_e32 vcc_lo, v52, v52
	v_add3_u32 v53, v52, v53, 0x7fff
	v_lshrrev_b32_e32 v53, 16, v53
	v_cndmask_b32_e32 v52, 0x7fc0, v53, vcc_lo
	global_store_short v[2:3], v52, off
	v_add_co_u32 v2, vcc_lo, v2, s6
	v_add_co_ci_u32_e64 v3, null, s7, v3, vcc_lo
	s_cbranch_scc1 .LBB7_6
	s_branch .LBB7_4
.LBB7_7:
	s_mov_b32 s0, 0
.LBB7_8:
	s_andn2_b32 vcc_lo, exec_lo, s0
	s_cbranch_vccnz .LBB7_14
; %bb.9:
	s_andn2_b32 vcc_lo, exec_lo, s9
	s_cbranch_vccnz .LBB7_14
; %bb.10:
	s_clause 0x1
	s_load_dwordx8 s[12:19], s[4:5], 0x38
	s_load_dwordx8 s[20:27], s[4:5], 0x80
	v_ashrrev_i32_e32 v6, 31, v4
	s_clause 0x1
	s_load_dwordx2 s[0:1], s[4:5], 0x10
	s_load_dwordx2 s[2:3], s[4:5], 0x58
	v_ashrrev_i32_e32 v8, 31, v5
	s_cmp_gt_i32 s10, 0
	s_mov_b32 s9, 0
	s_cselect_b32 s11, -1, 0
	s_waitcnt lgkmcnt(0)
	v_mul_lo_u32 v9, s17, v4
	v_mul_lo_u32 v10, s16, v6
	v_mad_u64_u32 v[0:1], null, s16, v4, 0
	v_mul_lo_u32 v13, s25, v4
	v_mul_lo_u32 v14, s24, v6
	v_mad_u64_u32 v[6:7], null, s24, v4, 0
	;; [unrolled: 3-line block ×4, first 2 shown]
	v_add3_u32 v1, v1, v10, v9
	v_add3_u32 v7, v7, v14, v13
	;; [unrolled: 1-line block ×3, first 2 shown]
	s_lshl_b64 s[4:5], s[12:13], 1
	s_lshl_b64 s[6:7], s[14:15], 1
	v_lshlrev_b64 v[0:1], 1, v[0:1]
	v_add3_u32 v5, v5, v8, v15
	v_lshlrev_b64 v[6:7], 1, v[6:7]
	v_lshlrev_b64 v[2:3], 1, v[2:3]
	v_add_co_u32 v0, vcc_lo, s0, v0
	v_lshlrev_b64 v[4:5], 1, v[4:5]
	v_add_co_ci_u32_e64 v1, null, s1, v1, vcc_lo
	v_add_co_u32 v6, vcc_lo, s2, v6
	v_add_co_ci_u32_e64 v7, null, s3, v7, vcc_lo
	v_add_co_u32 v0, vcc_lo, v0, v2
	;; [unrolled: 2-line block ×3, first 2 shown]
	v_add_co_ci_u32_e64 v3, null, v7, v5, vcc_lo
	s_lshl_b64 s[0:1], s[20:21], 1
	s_lshl_b64 s[2:3], s[22:23], 1
	s_inst_prefetch 0x1
	s_branch .LBB7_12
	.p2align	6
.LBB7_11:                               ;   in Loop: Header=BB7_12 Depth=1
	v_add_co_u32 v2, vcc_lo, v2, s0
	v_add_co_ci_u32_e64 v3, null, s1, v3, vcc_lo
	v_add_co_u32 v0, vcc_lo, v0, s4
	v_add_co_ci_u32_e64 v1, null, s5, v1, vcc_lo
	s_add_i32 s9, s9, 1
	s_cmp_eq_u32 s9, s8
	s_cbranch_scc1 .LBB7_14
.LBB7_12:                               ; =>This Loop Header: Depth=1
                                        ;     Child Loop BB7_13 Depth 2
	v_mov_b32_e32 v5, v1
	v_mov_b32_e32 v7, v3
	;; [unrolled: 1-line block ×4, first 2 shown]
	s_andn2_b32 vcc_lo, exec_lo, s11
	s_mov_b32 s12, s10
	s_cbranch_vccnz .LBB7_11
.LBB7_13:                               ;   Parent Loop BB7_12 Depth=1
                                        ; =>  This Inner Loop Header: Depth=2
	global_load_ushort v8, v[4:5], off
	v_add_co_u32 v4, vcc_lo, v4, s6
	v_add_co_ci_u32_e64 v5, null, s7, v5, vcc_lo
	s_add_i32 s12, s12, -1
	s_cmp_eq_u32 s12, 0
	s_waitcnt vmcnt(0)
	global_store_short v[6:7], v8, off
	v_add_co_u32 v6, vcc_lo, v6, s2
	v_add_co_ci_u32_e64 v7, null, s3, v7, vcc_lo
	s_cbranch_scc0 .LBB7_13
	s_branch .LBB7_11
.LBB7_14:
	s_inst_prefetch 0x2
	s_endpgm
	.section	.rodata,"a",@progbits
	.p2align	6, 0x0
	.amdhsa_kernel _ZN2at6native12_GLOBAL__N_128upsample_bicubic2d_out_frameIN3c108BFloat16EfEEviT0_S5_bN5torch10headeronly6detail27GenericPackedTensorAccessorINS8_14TensorAccessorINS3_8ArrayRefIlEEKT_Lm3ENS7_16DefaultPtrTraitsElEENS_6detail16IndexBoundsCheckILm4ElEESE_Lm4ESF_lEENS9_INSA_ISC_SD_Lm3ESF_lEESJ_SD_Lm4ESF_lEE
		.amdhsa_group_segment_fixed_size 0
		.amdhsa_private_segment_fixed_size 0
		.amdhsa_kernarg_size 416
		.amdhsa_user_sgpr_count 6
		.amdhsa_user_sgpr_private_segment_buffer 1
		.amdhsa_user_sgpr_dispatch_ptr 0
		.amdhsa_user_sgpr_queue_ptr 0
		.amdhsa_user_sgpr_kernarg_segment_ptr 1
		.amdhsa_user_sgpr_dispatch_id 0
		.amdhsa_user_sgpr_flat_scratch_init 0
		.amdhsa_user_sgpr_private_segment_size 0
		.amdhsa_wavefront_size32 1
		.amdhsa_uses_dynamic_stack 0
		.amdhsa_system_sgpr_private_segment_wavefront_offset 0
		.amdhsa_system_sgpr_workgroup_id_x 1
		.amdhsa_system_sgpr_workgroup_id_y 0
		.amdhsa_system_sgpr_workgroup_id_z 0
		.amdhsa_system_sgpr_workgroup_info 0
		.amdhsa_system_vgpr_workitem_id 0
		.amdhsa_next_free_vgpr 82
		.amdhsa_next_free_sgpr 34
		.amdhsa_reserve_vcc 1
		.amdhsa_reserve_flat_scratch 0
		.amdhsa_float_round_mode_32 0
		.amdhsa_float_round_mode_16_64 0
		.amdhsa_float_denorm_mode_32 3
		.amdhsa_float_denorm_mode_16_64 3
		.amdhsa_dx10_clamp 1
		.amdhsa_ieee_mode 1
		.amdhsa_fp16_overflow 0
		.amdhsa_workgroup_processor_mode 1
		.amdhsa_memory_ordered 1
		.amdhsa_forward_progress 1
		.amdhsa_shared_vgpr_count 0
		.amdhsa_exception_fp_ieee_invalid_op 0
		.amdhsa_exception_fp_denorm_src 0
		.amdhsa_exception_fp_ieee_div_zero 0
		.amdhsa_exception_fp_ieee_overflow 0
		.amdhsa_exception_fp_ieee_underflow 0
		.amdhsa_exception_fp_ieee_inexact 0
		.amdhsa_exception_int_div_zero 0
	.end_amdhsa_kernel
	.section	.text._ZN2at6native12_GLOBAL__N_128upsample_bicubic2d_out_frameIN3c108BFloat16EfEEviT0_S5_bN5torch10headeronly6detail27GenericPackedTensorAccessorINS8_14TensorAccessorINS3_8ArrayRefIlEEKT_Lm3ENS7_16DefaultPtrTraitsElEENS_6detail16IndexBoundsCheckILm4ElEESE_Lm4ESF_lEENS9_INSA_ISC_SD_Lm3ESF_lEESJ_SD_Lm4ESF_lEE,"axG",@progbits,_ZN2at6native12_GLOBAL__N_128upsample_bicubic2d_out_frameIN3c108BFloat16EfEEviT0_S5_bN5torch10headeronly6detail27GenericPackedTensorAccessorINS8_14TensorAccessorINS3_8ArrayRefIlEEKT_Lm3ENS7_16DefaultPtrTraitsElEENS_6detail16IndexBoundsCheckILm4ElEESE_Lm4ESF_lEENS9_INSA_ISC_SD_Lm3ESF_lEESJ_SD_Lm4ESF_lEE,comdat
.Lfunc_end7:
	.size	_ZN2at6native12_GLOBAL__N_128upsample_bicubic2d_out_frameIN3c108BFloat16EfEEviT0_S5_bN5torch10headeronly6detail27GenericPackedTensorAccessorINS8_14TensorAccessorINS3_8ArrayRefIlEEKT_Lm3ENS7_16DefaultPtrTraitsElEENS_6detail16IndexBoundsCheckILm4ElEESE_Lm4ESF_lEENS9_INSA_ISC_SD_Lm3ESF_lEESJ_SD_Lm4ESF_lEE, .Lfunc_end7-_ZN2at6native12_GLOBAL__N_128upsample_bicubic2d_out_frameIN3c108BFloat16EfEEviT0_S5_bN5torch10headeronly6detail27GenericPackedTensorAccessorINS8_14TensorAccessorINS3_8ArrayRefIlEEKT_Lm3ENS7_16DefaultPtrTraitsElEENS_6detail16IndexBoundsCheckILm4ElEESE_Lm4ESF_lEENS9_INSA_ISC_SD_Lm3ESF_lEESJ_SD_Lm4ESF_lEE
                                        ; -- End function
	.set _ZN2at6native12_GLOBAL__N_128upsample_bicubic2d_out_frameIN3c108BFloat16EfEEviT0_S5_bN5torch10headeronly6detail27GenericPackedTensorAccessorINS8_14TensorAccessorINS3_8ArrayRefIlEEKT_Lm3ENS7_16DefaultPtrTraitsElEENS_6detail16IndexBoundsCheckILm4ElEESE_Lm4ESF_lEENS9_INSA_ISC_SD_Lm3ESF_lEESJ_SD_Lm4ESF_lEE.num_vgpr, 82
	.set _ZN2at6native12_GLOBAL__N_128upsample_bicubic2d_out_frameIN3c108BFloat16EfEEviT0_S5_bN5torch10headeronly6detail27GenericPackedTensorAccessorINS8_14TensorAccessorINS3_8ArrayRefIlEEKT_Lm3ENS7_16DefaultPtrTraitsElEENS_6detail16IndexBoundsCheckILm4ElEESE_Lm4ESF_lEENS9_INSA_ISC_SD_Lm3ESF_lEESJ_SD_Lm4ESF_lEE.num_agpr, 0
	.set _ZN2at6native12_GLOBAL__N_128upsample_bicubic2d_out_frameIN3c108BFloat16EfEEviT0_S5_bN5torch10headeronly6detail27GenericPackedTensorAccessorINS8_14TensorAccessorINS3_8ArrayRefIlEEKT_Lm3ENS7_16DefaultPtrTraitsElEENS_6detail16IndexBoundsCheckILm4ElEESE_Lm4ESF_lEENS9_INSA_ISC_SD_Lm3ESF_lEESJ_SD_Lm4ESF_lEE.numbered_sgpr, 34
	.set _ZN2at6native12_GLOBAL__N_128upsample_bicubic2d_out_frameIN3c108BFloat16EfEEviT0_S5_bN5torch10headeronly6detail27GenericPackedTensorAccessorINS8_14TensorAccessorINS3_8ArrayRefIlEEKT_Lm3ENS7_16DefaultPtrTraitsElEENS_6detail16IndexBoundsCheckILm4ElEESE_Lm4ESF_lEENS9_INSA_ISC_SD_Lm3ESF_lEESJ_SD_Lm4ESF_lEE.num_named_barrier, 0
	.set _ZN2at6native12_GLOBAL__N_128upsample_bicubic2d_out_frameIN3c108BFloat16EfEEviT0_S5_bN5torch10headeronly6detail27GenericPackedTensorAccessorINS8_14TensorAccessorINS3_8ArrayRefIlEEKT_Lm3ENS7_16DefaultPtrTraitsElEENS_6detail16IndexBoundsCheckILm4ElEESE_Lm4ESF_lEENS9_INSA_ISC_SD_Lm3ESF_lEESJ_SD_Lm4ESF_lEE.private_seg_size, 0
	.set _ZN2at6native12_GLOBAL__N_128upsample_bicubic2d_out_frameIN3c108BFloat16EfEEviT0_S5_bN5torch10headeronly6detail27GenericPackedTensorAccessorINS8_14TensorAccessorINS3_8ArrayRefIlEEKT_Lm3ENS7_16DefaultPtrTraitsElEENS_6detail16IndexBoundsCheckILm4ElEESE_Lm4ESF_lEENS9_INSA_ISC_SD_Lm3ESF_lEESJ_SD_Lm4ESF_lEE.uses_vcc, 1
	.set _ZN2at6native12_GLOBAL__N_128upsample_bicubic2d_out_frameIN3c108BFloat16EfEEviT0_S5_bN5torch10headeronly6detail27GenericPackedTensorAccessorINS8_14TensorAccessorINS3_8ArrayRefIlEEKT_Lm3ENS7_16DefaultPtrTraitsElEENS_6detail16IndexBoundsCheckILm4ElEESE_Lm4ESF_lEENS9_INSA_ISC_SD_Lm3ESF_lEESJ_SD_Lm4ESF_lEE.uses_flat_scratch, 0
	.set _ZN2at6native12_GLOBAL__N_128upsample_bicubic2d_out_frameIN3c108BFloat16EfEEviT0_S5_bN5torch10headeronly6detail27GenericPackedTensorAccessorINS8_14TensorAccessorINS3_8ArrayRefIlEEKT_Lm3ENS7_16DefaultPtrTraitsElEENS_6detail16IndexBoundsCheckILm4ElEESE_Lm4ESF_lEENS9_INSA_ISC_SD_Lm3ESF_lEESJ_SD_Lm4ESF_lEE.has_dyn_sized_stack, 0
	.set _ZN2at6native12_GLOBAL__N_128upsample_bicubic2d_out_frameIN3c108BFloat16EfEEviT0_S5_bN5torch10headeronly6detail27GenericPackedTensorAccessorINS8_14TensorAccessorINS3_8ArrayRefIlEEKT_Lm3ENS7_16DefaultPtrTraitsElEENS_6detail16IndexBoundsCheckILm4ElEESE_Lm4ESF_lEENS9_INSA_ISC_SD_Lm3ESF_lEESJ_SD_Lm4ESF_lEE.has_recursion, 0
	.set _ZN2at6native12_GLOBAL__N_128upsample_bicubic2d_out_frameIN3c108BFloat16EfEEviT0_S5_bN5torch10headeronly6detail27GenericPackedTensorAccessorINS8_14TensorAccessorINS3_8ArrayRefIlEEKT_Lm3ENS7_16DefaultPtrTraitsElEENS_6detail16IndexBoundsCheckILm4ElEESE_Lm4ESF_lEENS9_INSA_ISC_SD_Lm3ESF_lEESJ_SD_Lm4ESF_lEE.has_indirect_call, 0
	.section	.AMDGPU.csdata,"",@progbits
; Kernel info:
; codeLenInByte = 2644
; TotalNumSgprs: 36
; NumVgprs: 82
; ScratchSize: 0
; MemoryBound: 0
; FloatMode: 240
; IeeeMode: 1
; LDSByteSize: 0 bytes/workgroup (compile time only)
; SGPRBlocks: 0
; VGPRBlocks: 10
; NumSGPRsForWavesPerEU: 36
; NumVGPRsForWavesPerEU: 82
; Occupancy: 10
; WaveLimiterHint : 1
; COMPUTE_PGM_RSRC2:SCRATCH_EN: 0
; COMPUTE_PGM_RSRC2:USER_SGPR: 6
; COMPUTE_PGM_RSRC2:TRAP_HANDLER: 0
; COMPUTE_PGM_RSRC2:TGID_X_EN: 1
; COMPUTE_PGM_RSRC2:TGID_Y_EN: 0
; COMPUTE_PGM_RSRC2:TGID_Z_EN: 0
; COMPUTE_PGM_RSRC2:TIDIG_COMP_CNT: 0
	.section	.text._ZN2at6native12_GLOBAL__N_137upsample_bicubic2d_backward_out_frameIddEEviT0_S3_bN5torch10headeronly6detail27GenericPackedTensorAccessorINS6_14TensorAccessorIN3c108ArrayRefIlEET_Lm3ENS5_16DefaultPtrTraitsElEENS_6detail16IndexBoundsCheckILm4ElEESC_Lm4ESD_lEENS7_INS8_ISB_KSC_Lm3ESD_lEESH_SJ_Lm4ESD_lEE,"axG",@progbits,_ZN2at6native12_GLOBAL__N_137upsample_bicubic2d_backward_out_frameIddEEviT0_S3_bN5torch10headeronly6detail27GenericPackedTensorAccessorINS6_14TensorAccessorIN3c108ArrayRefIlEET_Lm3ENS5_16DefaultPtrTraitsElEENS_6detail16IndexBoundsCheckILm4ElEESC_Lm4ESD_lEENS7_INS8_ISB_KSC_Lm3ESD_lEESH_SJ_Lm4ESD_lEE,comdat
	.globl	_ZN2at6native12_GLOBAL__N_137upsample_bicubic2d_backward_out_frameIddEEviT0_S3_bN5torch10headeronly6detail27GenericPackedTensorAccessorINS6_14TensorAccessorIN3c108ArrayRefIlEET_Lm3ENS5_16DefaultPtrTraitsElEENS_6detail16IndexBoundsCheckILm4ElEESC_Lm4ESD_lEENS7_INS8_ISB_KSC_Lm3ESD_lEESH_SJ_Lm4ESD_lEE ; -- Begin function _ZN2at6native12_GLOBAL__N_137upsample_bicubic2d_backward_out_frameIddEEviT0_S3_bN5torch10headeronly6detail27GenericPackedTensorAccessorINS6_14TensorAccessorIN3c108ArrayRefIlEET_Lm3ENS5_16DefaultPtrTraitsElEENS_6detail16IndexBoundsCheckILm4ElEESC_Lm4ESD_lEENS7_INS8_ISB_KSC_Lm3ESD_lEESH_SJ_Lm4ESD_lEE
	.p2align	8
	.type	_ZN2at6native12_GLOBAL__N_137upsample_bicubic2d_backward_out_frameIddEEviT0_S3_bN5torch10headeronly6detail27GenericPackedTensorAccessorINS6_14TensorAccessorIN3c108ArrayRefIlEET_Lm3ENS5_16DefaultPtrTraitsElEENS_6detail16IndexBoundsCheckILm4ElEESC_Lm4ESD_lEENS7_INS8_ISB_KSC_Lm3ESD_lEESH_SJ_Lm4ESD_lEE,@function
_ZN2at6native12_GLOBAL__N_137upsample_bicubic2d_backward_out_frameIddEEviT0_S3_bN5torch10headeronly6detail27GenericPackedTensorAccessorINS6_14TensorAccessorIN3c108ArrayRefIlEET_Lm3ENS5_16DefaultPtrTraitsElEENS_6detail16IndexBoundsCheckILm4ElEESC_Lm4ESD_lEENS7_INS8_ISB_KSC_Lm3ESD_lEESH_SJ_Lm4ESD_lEE: ; @_ZN2at6native12_GLOBAL__N_137upsample_bicubic2d_backward_out_frameIddEEviT0_S3_bN5torch10headeronly6detail27GenericPackedTensorAccessorINS6_14TensorAccessorIN3c108ArrayRefIlEET_Lm3ENS5_16DefaultPtrTraitsElEENS_6detail16IndexBoundsCheckILm4ElEESC_Lm4ESD_lEENS7_INS8_ISB_KSC_Lm3ESD_lEESH_SJ_Lm4ESD_lEE
; %bb.0:
	s_clause 0x1
	s_load_dword s0, s[4:5], 0xbc
	s_load_dword s1, s[4:5], 0x0
	s_waitcnt lgkmcnt(0)
	s_and_b32 s0, s0, 0xffff
	v_mad_u64_u32 v[0:1], null, s6, s0, v[0:1]
	s_mov_b32 s0, exec_lo
	v_cmpx_gt_i32_e64 s1, v0
	s_cbranch_execz .LBB8_55
; %bb.1:
	s_load_dwordx4 s[0:3], s[4:5], 0x80
	v_sub_nc_u32_e32 v3, 0, v0
	s_load_dwordx8 s[8:15], s[4:5], 0x28
	v_max_i32_e32 v3, v0, v3
	s_waitcnt lgkmcnt(0)
	s_abs_i32 s1, s2
	v_cvt_f32_u32_e32 v1, s1
	s_sub_i32 s3, 0, s1
	s_cmp_lg_u32 s12, s0
	s_cselect_b32 s0, -1, 0
	v_rcp_iflag_f32_e32 v1, v1
	s_cmp_lg_u32 s14, s2
	v_mul_f32_e32 v1, 0x4f7ffffe, v1
	v_cvt_u32_f32_e32 v1, v1
	v_mul_lo_u32 v2, s3, v1
	v_mul_hi_u32 v2, v1, v2
	v_add_nc_u32_e32 v1, v1, v2
	v_mul_hi_u32 v1, v3, v1
	v_mul_lo_u32 v2, v1, s1
	v_sub_nc_u32_e32 v2, v3, v2
	v_add_nc_u32_e32 v3, 1, v1
	v_subrev_nc_u32_e32 v4, s1, v2
	v_cmp_le_u32_e32 vcc_lo, s1, v2
	v_cndmask_b32_e32 v1, v1, v3, vcc_lo
	v_cndmask_b32_e32 v2, v2, v4, vcc_lo
	v_xor_b32_e32 v3, s2, v0
	v_add_nc_u32_e32 v4, 1, v1
	v_cmp_le_u32_e32 vcc_lo, s1, v2
	v_ashrrev_i32_e32 v3, 31, v3
	s_cselect_b32 s1, -1, 0
	s_or_b32 s0, s1, s0
	v_cndmask_b32_e32 v1, v1, v4, vcc_lo
	s_and_b32 vcc_lo, exec_lo, s0
	s_mov_b32 s0, -1
	v_xor_b32_e32 v1, v1, v3
	v_sub_nc_u32_e32 v44, v1, v3
	v_mul_lo_u32 v1, v44, s2
	v_sub_nc_u32_e32 v45, v0, v1
	s_cbranch_vccz .LBB8_49
; %bb.2:
	s_clause 0x1
	s_load_dword s6, s[4:5], 0x18
	s_load_dwordx4 s[0:3], s[4:5], 0x8
	v_cvt_f64_i32_e32 v[2:3], v45
	s_mov_b32 s7, -1
                                        ; implicit-def: $vgpr0_vgpr1
	s_waitcnt lgkmcnt(0)
	s_bitcmp1_b32 s6, 0
	s_cselect_b32 s6, -1, 0
	s_xor_b32 s6, s6, -1
	s_and_b32 vcc_lo, exec_lo, s6
	s_cbranch_vccnz .LBB8_6
; %bb.3:
	s_andn2_b32 vcc_lo, exec_lo, s7
	s_cbranch_vccz .LBB8_7
.LBB8_4:
	v_cvt_f64_i32_e32 v[4:5], v44
	s_and_b32 vcc_lo, exec_lo, s6
	s_cbranch_vccz .LBB8_8
.LBB8_5:
	v_add_f64 v[2:3], v[4:5], 0.5
	v_fma_f64 v[2:3], s[0:1], v[2:3], -0.5
	s_cbranch_execz .LBB8_9
	s_branch .LBB8_10
.LBB8_6:
	v_add_f64 v[0:1], v[2:3], 0.5
	v_fma_f64 v[0:1], s[2:3], v[0:1], -0.5
	s_cbranch_execnz .LBB8_4
.LBB8_7:
	v_mul_f64 v[0:1], s[2:3], v[2:3]
	v_cvt_f64_i32_e32 v[4:5], v44
	s_and_b32 vcc_lo, exec_lo, s6
	s_cbranch_vccnz .LBB8_5
.LBB8_8:
                                        ; implicit-def: $vgpr2_vgpr3
.LBB8_9:
	v_mul_f64 v[2:3], s[0:1], v[4:5]
.LBB8_10:
	s_cmp_lt_i32 s8, 1
	s_cbranch_scc1 .LBB8_48
; %bb.11:
	v_cvt_f32_f64_e32 v4, v[0:1]
	v_cvt_f32_f64_e32 v6, v[2:3]
	s_load_dwordx8 s[16:23], s[4:5], 0x90
	v_ashrrev_i32_e32 v7, 31, v45
	v_ashrrev_i32_e32 v5, 31, v44
	s_load_dwordx8 s[24:31], s[4:5], 0x48
	s_cmp_gt_i32 s10, 0
	s_mov_b32 s2, 0
	s_cselect_b32 s6, -1, 0
	s_add_i32 s7, s12, -1
	s_add_i32 s9, s14, -1
	s_mov_b32 s3, 0x3ff40000
	s_mov_b32 s0, 0
	;; [unrolled: 1-line block ×3, first 2 shown]
	s_waitcnt lgkmcnt(0)
	v_mul_lo_u32 v8, s21, v44
	v_floor_f32_e32 v9, v4
	v_floor_f32_e32 v15, v6
	v_mul_lo_u32 v12, s20, v5
	v_mad_u64_u32 v[4:5], null, s20, v44, 0
	v_cvt_i32_f32_e32 v14, v9
	v_mul_lo_u32 v9, s22, v7
	v_mul_lo_u32 v13, s23, v45
	v_mad_u64_u32 v[10:11], null, s22, v45, 0
	v_cvt_f64_i32_e32 v[6:7], v14
	v_cvt_i32_f32_e32 v15, v15
	v_add3_u32 v5, v5, v12, v8
	s_load_dwordx2 s[20:21], s[4:5], 0x68
	v_min_i32_e32 v16, s9, v14
	v_add_nc_u32_e32 v17, 1, v14
	v_add3_u32 v11, v11, v9, v13
	v_cvt_f64_i32_e32 v[8:9], v15
	v_min_i32_e32 v18, s7, v15
	v_max_i32_e32 v16, 0, v16
	v_add_nc_u32_e32 v12, -1, v15
	v_add_nc_u32_e32 v13, -1, v14
	v_lshlrev_b64 v[4:5], 3, v[4:5]
	v_max_i32_e32 v41, 0, v18
	v_mad_u64_u32 v[30:31], null, s30, v16, 0
	v_min_i32_e32 v12, s7, v12
	v_min_i32_e32 v13, s9, v13
	v_mad_u64_u32 v[22:23], null, s28, v41, 0
	v_add_nc_u32_e32 v19, 1, v15
	v_add_nc_u32_e32 v14, 2, v14
	v_add_f64 v[0:1], v[0:1], -v[6:7]
	s_waitcnt lgkmcnt(0)
	v_add_co_u32 v58, vcc_lo, s20, v4
	v_add_nc_u32_e32 v15, 2, v15
	v_add_co_ci_u32_e64 v59, null, s21, v5, vcc_lo
	v_mov_b32_e32 v4, v31
	v_add_f64 v[2:3], v[2:3], -v[8:9]
	v_mov_b32_e32 v5, v23
	v_max_i32_e32 v43, 0, v12
	v_min_i32_e32 v17, s9, v17
	v_max_i32_e32 v46, 0, v13
	v_min_i32_e32 v7, s7, v19
	v_min_i32_e32 v6, s9, v14
	;; [unrolled: 1-line block ×3, first 2 shown]
	v_mad_u64_u32 v[36:37], null, s31, v16, v[4:5]
	v_mad_u64_u32 v[20:21], null, s28, v43, 0
	v_max_i32_e32 v47, 0, v17
	v_mad_u64_u32 v[28:29], null, s30, v46, 0
	v_add_f64 v[8:9], v[0:1], 1.0
	v_fma_f64 v[12:13], v[0:1], s[2:3], 0xc0020000
	v_add_f64 v[17:18], -v[0:1], 1.0
	v_max_i32_e32 v49, 0, v7
	v_max_i32_e32 v48, 0, v6
	;; [unrolled: 1-line block ×3, first 2 shown]
	v_mad_u64_u32 v[32:33], null, s30, v47, 0
	v_fma_f64 v[15:16], v[2:3], s[2:3], 0xc0020000
	v_add_f64 v[39:40], -v[2:3], 1.0
	v_mad_u64_u32 v[24:25], null, s28, v49, 0
	v_mad_u64_u32 v[34:35], null, s30, v48, 0
	v_mov_b32_e32 v6, v21
	v_mad_u64_u32 v[26:27], null, s28, v51, 0
	v_mov_b32_e32 v7, v29
	v_mov_b32_e32 v4, v33
	v_mad_u64_u32 v[41:42], null, s29, v41, v[5:6]
	v_mov_b32_e32 v5, v25
	v_fma_f64 v[37:38], v[8:9], s[0:1], 0x400e0000
	v_mad_u64_u32 v[42:43], null, s29, v43, v[6:7]
	v_mad_u64_u32 v[6:7], null, s31, v46, v[7:8]
	v_mov_b32_e32 v14, v35
	v_mov_b32_e32 v19, v27
	v_mad_u64_u32 v[46:47], null, s31, v47, v[4:5]
	v_mov_b32_e32 v21, v42
	v_mad_u64_u32 v[47:48], null, s31, v48, v[14:15]
	v_mad_u64_u32 v[48:49], null, s29, v49, v[5:6]
	;; [unrolled: 1-line block ×3, first 2 shown]
	v_add_f64 v[49:50], v[2:3], 1.0
	v_mul_f64 v[4:5], v[0:1], v[12:13]
	v_mul_f64 v[12:13], v[2:3], v[15:16]
	v_add_f64 v[52:53], v[17:18], 1.0
	v_mov_b32_e32 v29, v6
	v_fma_f64 v[42:43], v[17:18], s[2:3], 0xc0020000
	v_fma_f64 v[14:15], v[8:9], v[37:38], 0xc0180000
	v_add_f64 v[37:38], v[39:40], 1.0
	v_lshlrev_b64 v[56:57], 3, v[10:11]
	v_mov_b32_e32 v31, v36
	v_mov_b32_e32 v33, v46
	;; [unrolled: 1-line block ×6, first 2 shown]
	v_add_co_u32 v46, vcc_lo, v58, v56
	v_lshlrev_b64 v[20:21], 3, v[20:21]
	v_lshlrev_b64 v[22:23], 3, v[22:23]
	;; [unrolled: 1-line block ×5, first 2 shown]
	v_fma_f64 v[54:55], v[49:50], s[0:1], 0x400e0000
	v_fma_f64 v[4:5], v[0:1], v[4:5], 1.0
	v_fma_f64 v[0:1], v[39:40], s[2:3], 0xc0020000
	v_fma_f64 v[6:7], v[2:3], v[12:13], 1.0
	v_fma_f64 v[2:3], v[52:53], s[0:1], 0x400e0000
	v_lshlrev_b64 v[30:31], 3, v[30:31]
	v_fma_f64 v[8:9], v[8:9], v[14:15], 0x40080000
	v_fma_f64 v[12:13], v[37:38], s[0:1], 0x400e0000
	v_mul_f64 v[14:15], v[17:18], v[42:43]
	s_load_dwordx2 s[0:1], s[4:5], 0x20
	v_lshlrev_b64 v[32:33], 3, v[32:33]
	v_lshlrev_b64 v[34:35], 3, v[34:35]
	v_add_co_ci_u32_e64 v47, null, v59, v57, vcc_lo
	s_mov_b32 s2, 0
	v_fma_f64 v[42:43], v[49:50], v[54:55], 0xc0180000
	v_mul_f64 v[0:1], v[39:40], v[0:1]
	v_fma_f64 v[2:3], v[52:53], v[2:3], 0xc0180000
	v_fma_f64 v[54:55], v[37:38], v[12:13], 0xc0180000
	v_fma_f64 v[10:11], v[17:18], v[14:15], 1.0
	v_fma_f64 v[12:13], v[49:50], v[42:43], 0x40080000
	v_fma_f64 v[14:15], v[39:40], v[0:1], 1.0
	v_fma_f64 v[16:17], v[52:53], v[2:3], 0x40080000
	v_fma_f64 v[18:19], v[37:38], v[54:55], 0x40080000
	s_branch .LBB8_13
.LBB8_12:                               ;   in Loop: Header=BB8_13 Depth=1
	s_add_i32 s2, s2, 1
	s_cmp_eq_u32 s2, s8
	s_cbranch_scc1 .LBB8_48
.LBB8_13:                               ; =>This Loop Header: Depth=1
                                        ;     Child Loop BB8_15 Depth 2
                                        ;       Child Loop BB8_16 Depth 3
                                        ;       Child Loop BB8_18 Depth 3
                                        ;       Child Loop BB8_20 Depth 3
                                        ;       Child Loop BB8_22 Depth 3
                                        ;       Child Loop BB8_24 Depth 3
                                        ;       Child Loop BB8_26 Depth 3
                                        ;       Child Loop BB8_28 Depth 3
                                        ;       Child Loop BB8_30 Depth 3
                                        ;       Child Loop BB8_32 Depth 3
                                        ;       Child Loop BB8_34 Depth 3
                                        ;       Child Loop BB8_36 Depth 3
                                        ;       Child Loop BB8_38 Depth 3
                                        ;       Child Loop BB8_40 Depth 3
                                        ;       Child Loop BB8_42 Depth 3
                                        ;       Child Loop BB8_44 Depth 3
                                        ;       Child Loop BB8_46 Depth 3
	s_andn2_b32 vcc_lo, exec_lo, s6
	s_cbranch_vccnz .LBB8_12
; %bb.14:                               ;   in Loop: Header=BB8_13 Depth=1
	s_mul_i32 s3, s17, s2
	s_mul_hi_u32 s7, s16, s2
	s_mul_i32 s12, s16, s2
	s_add_i32 s13, s7, s3
	s_mul_i32 s3, s25, s2
	s_mul_hi_u32 s7, s24, s2
	s_lshl_b64 s[12:13], s[12:13], 3
	s_add_i32 s15, s7, s3
	s_mul_i32 s14, s24, s2
	v_add_co_u32 v48, vcc_lo, v46, s12
	s_lshl_b64 s[14:15], s[14:15], 3
	v_add_co_ci_u32_e64 v49, null, s13, v47, vcc_lo
	s_waitcnt lgkmcnt(0)
	s_add_u32 s3, s0, s14
	s_addc_u32 s7, s1, s15
	s_mov_b32 s9, 0
.LBB8_15:                               ;   Parent Loop BB8_13 Depth=1
                                        ; =>  This Loop Header: Depth=2
                                        ;       Child Loop BB8_16 Depth 3
                                        ;       Child Loop BB8_18 Depth 3
                                        ;       Child Loop BB8_20 Depth 3
                                        ;       Child Loop BB8_22 Depth 3
                                        ;       Child Loop BB8_24 Depth 3
                                        ;       Child Loop BB8_26 Depth 3
                                        ;       Child Loop BB8_28 Depth 3
                                        ;       Child Loop BB8_30 Depth 3
                                        ;       Child Loop BB8_32 Depth 3
                                        ;       Child Loop BB8_34 Depth 3
                                        ;       Child Loop BB8_36 Depth 3
                                        ;       Child Loop BB8_38 Depth 3
                                        ;       Child Loop BB8_40 Depth 3
                                        ;       Child Loop BB8_42 Depth 3
                                        ;       Child Loop BB8_44 Depth 3
                                        ;       Child Loop BB8_46 Depth 3
	s_mul_i32 s11, s19, s9
	s_mul_hi_u32 s13, s18, s9
	s_mul_i32 s12, s18, s9
	s_add_i32 s13, s13, s11
	s_mul_i32 s11, s27, s9
	s_lshl_b64 s[12:13], s[12:13], 3
	v_add_co_u32 v0, vcc_lo, v48, s12
	v_add_co_ci_u32_e64 v1, null, s13, v49, vcc_lo
	s_mul_hi_u32 s12, s26, s9
	s_add_i32 s13, s12, s11
	global_load_dwordx2 v[36:37], v[0:1], off
	s_mul_i32 s12, s26, s9
	s_lshl_b64 s[12:13], s[12:13], 3
	s_add_u32 s11, s3, s12
	s_addc_u32 s12, s7, s13
	v_add_co_u32 v50, vcc_lo, s11, v20
	v_add_co_ci_u32_e64 v51, null, s12, v21, vcc_lo
	s_mov_b32 s13, 0
	v_add_co_u32 v40, vcc_lo, v50, v28
	v_add_co_ci_u32_e64 v41, null, v51, v29, vcc_lo
	global_load_dwordx2 v[2:3], v[40:41], off
	s_waitcnt vmcnt(1)
	v_mul_f64 v[38:39], v[36:37], v[12:13]
	v_mul_f64 v[42:43], v[38:39], v[8:9]
.LBB8_16:                               ;   Parent Loop BB8_13 Depth=1
                                        ;     Parent Loop BB8_15 Depth=2
                                        ; =>    This Inner Loop Header: Depth=3
	s_waitcnt vmcnt(0)
	v_add_f64 v[0:1], v[2:3], v[42:43]
	global_atomic_cmpswap_x2 v[0:1], v[40:41], v[0:3], off glc
	s_waitcnt vmcnt(0)
	v_cmp_eq_u64_e32 vcc_lo, v[0:1], v[2:3]
	v_mov_b32_e32 v3, v1
	v_mov_b32_e32 v2, v0
	s_or_b32 s13, vcc_lo, s13
	s_andn2_b32 exec_lo, exec_lo, s13
	s_cbranch_execnz .LBB8_16
; %bb.17:                               ;   in Loop: Header=BB8_15 Depth=2
	s_or_b32 exec_lo, exec_lo, s13
	v_add_co_u32 v40, vcc_lo, v50, v30
	v_add_co_ci_u32_e64 v41, null, v51, v31, vcc_lo
	v_mul_f64 v[42:43], v[38:39], v[4:5]
	s_mov_b32 s13, 0
	global_load_dwordx2 v[2:3], v[40:41], off
.LBB8_18:                               ;   Parent Loop BB8_13 Depth=1
                                        ;     Parent Loop BB8_15 Depth=2
                                        ; =>    This Inner Loop Header: Depth=3
	s_waitcnt vmcnt(0)
	v_add_f64 v[0:1], v[2:3], v[42:43]
	global_atomic_cmpswap_x2 v[0:1], v[40:41], v[0:3], off glc
	s_waitcnt vmcnt(0)
	v_cmp_eq_u64_e32 vcc_lo, v[0:1], v[2:3]
	v_mov_b32_e32 v3, v1
	v_mov_b32_e32 v2, v0
	s_or_b32 s13, vcc_lo, s13
	s_andn2_b32 exec_lo, exec_lo, s13
	s_cbranch_execnz .LBB8_18
; %bb.19:                               ;   in Loop: Header=BB8_15 Depth=2
	s_or_b32 exec_lo, exec_lo, s13
	v_add_co_u32 v40, vcc_lo, v50, v32
	v_add_co_ci_u32_e64 v41, null, v51, v33, vcc_lo
	v_mul_f64 v[42:43], v[38:39], v[10:11]
	s_mov_b32 s13, 0
	global_load_dwordx2 v[2:3], v[40:41], off
	;; [unrolled: 20-line block ×3, first 2 shown]
.LBB8_22:                               ;   Parent Loop BB8_13 Depth=1
                                        ;     Parent Loop BB8_15 Depth=2
                                        ; =>    This Inner Loop Header: Depth=3
	s_waitcnt vmcnt(0)
	v_add_f64 v[0:1], v[2:3], v[38:39]
	global_atomic_cmpswap_x2 v[0:1], v[40:41], v[0:3], off glc
	s_waitcnt vmcnt(0)
	v_cmp_eq_u64_e32 vcc_lo, v[0:1], v[2:3]
	v_mov_b32_e32 v3, v1
	v_mov_b32_e32 v2, v0
	s_or_b32 s13, vcc_lo, s13
	s_andn2_b32 exec_lo, exec_lo, s13
	s_cbranch_execnz .LBB8_22
; %bb.23:                               ;   in Loop: Header=BB8_15 Depth=2
	s_or_b32 exec_lo, exec_lo, s13
	v_add_co_u32 v50, vcc_lo, s11, v22
	v_add_co_ci_u32_e64 v51, null, s12, v23, vcc_lo
	v_mul_f64 v[38:39], v[36:37], v[6:7]
	v_add_co_u32 v40, vcc_lo, v50, v28
	v_add_co_ci_u32_e64 v41, null, v51, v29, vcc_lo
	s_mov_b32 s13, 0
	global_load_dwordx2 v[2:3], v[40:41], off
	v_mul_f64 v[42:43], v[38:39], v[8:9]
.LBB8_24:                               ;   Parent Loop BB8_13 Depth=1
                                        ;     Parent Loop BB8_15 Depth=2
                                        ; =>    This Inner Loop Header: Depth=3
	s_waitcnt vmcnt(0)
	v_add_f64 v[0:1], v[2:3], v[42:43]
	global_atomic_cmpswap_x2 v[0:1], v[40:41], v[0:3], off glc
	s_waitcnt vmcnt(0)
	v_cmp_eq_u64_e32 vcc_lo, v[0:1], v[2:3]
	v_mov_b32_e32 v3, v1
	v_mov_b32_e32 v2, v0
	s_or_b32 s13, vcc_lo, s13
	s_andn2_b32 exec_lo, exec_lo, s13
	s_cbranch_execnz .LBB8_24
; %bb.25:                               ;   in Loop: Header=BB8_15 Depth=2
	s_or_b32 exec_lo, exec_lo, s13
	v_add_co_u32 v40, vcc_lo, v50, v30
	v_add_co_ci_u32_e64 v41, null, v51, v31, vcc_lo
	v_mul_f64 v[42:43], v[38:39], v[4:5]
	s_mov_b32 s13, 0
	global_load_dwordx2 v[2:3], v[40:41], off
.LBB8_26:                               ;   Parent Loop BB8_13 Depth=1
                                        ;     Parent Loop BB8_15 Depth=2
                                        ; =>    This Inner Loop Header: Depth=3
	s_waitcnt vmcnt(0)
	v_add_f64 v[0:1], v[2:3], v[42:43]
	global_atomic_cmpswap_x2 v[0:1], v[40:41], v[0:3], off glc
	s_waitcnt vmcnt(0)
	v_cmp_eq_u64_e32 vcc_lo, v[0:1], v[2:3]
	v_mov_b32_e32 v3, v1
	v_mov_b32_e32 v2, v0
	s_or_b32 s13, vcc_lo, s13
	s_andn2_b32 exec_lo, exec_lo, s13
	s_cbranch_execnz .LBB8_26
; %bb.27:                               ;   in Loop: Header=BB8_15 Depth=2
	s_or_b32 exec_lo, exec_lo, s13
	v_add_co_u32 v40, vcc_lo, v50, v32
	v_add_co_ci_u32_e64 v41, null, v51, v33, vcc_lo
	v_mul_f64 v[42:43], v[38:39], v[10:11]
	s_mov_b32 s13, 0
	global_load_dwordx2 v[2:3], v[40:41], off
	;; [unrolled: 20-line block ×3, first 2 shown]
.LBB8_30:                               ;   Parent Loop BB8_13 Depth=1
                                        ;     Parent Loop BB8_15 Depth=2
                                        ; =>    This Inner Loop Header: Depth=3
	s_waitcnt vmcnt(0)
	v_add_f64 v[0:1], v[2:3], v[38:39]
	global_atomic_cmpswap_x2 v[0:1], v[40:41], v[0:3], off glc
	s_waitcnt vmcnt(0)
	v_cmp_eq_u64_e32 vcc_lo, v[0:1], v[2:3]
	v_mov_b32_e32 v3, v1
	v_mov_b32_e32 v2, v0
	s_or_b32 s13, vcc_lo, s13
	s_andn2_b32 exec_lo, exec_lo, s13
	s_cbranch_execnz .LBB8_30
; %bb.31:                               ;   in Loop: Header=BB8_15 Depth=2
	s_or_b32 exec_lo, exec_lo, s13
	v_add_co_u32 v50, vcc_lo, s11, v24
	v_add_co_ci_u32_e64 v51, null, s12, v25, vcc_lo
	v_mul_f64 v[38:39], v[36:37], v[14:15]
	v_add_co_u32 v40, vcc_lo, v50, v28
	v_add_co_ci_u32_e64 v41, null, v51, v29, vcc_lo
	s_mov_b32 s13, 0
	global_load_dwordx2 v[2:3], v[40:41], off
	v_mul_f64 v[42:43], v[38:39], v[8:9]
.LBB8_32:                               ;   Parent Loop BB8_13 Depth=1
                                        ;     Parent Loop BB8_15 Depth=2
                                        ; =>    This Inner Loop Header: Depth=3
	s_waitcnt vmcnt(0)
	v_add_f64 v[0:1], v[2:3], v[42:43]
	global_atomic_cmpswap_x2 v[0:1], v[40:41], v[0:3], off glc
	s_waitcnt vmcnt(0)
	v_cmp_eq_u64_e32 vcc_lo, v[0:1], v[2:3]
	v_mov_b32_e32 v3, v1
	v_mov_b32_e32 v2, v0
	s_or_b32 s13, vcc_lo, s13
	s_andn2_b32 exec_lo, exec_lo, s13
	s_cbranch_execnz .LBB8_32
; %bb.33:                               ;   in Loop: Header=BB8_15 Depth=2
	s_or_b32 exec_lo, exec_lo, s13
	v_add_co_u32 v40, vcc_lo, v50, v30
	v_add_co_ci_u32_e64 v41, null, v51, v31, vcc_lo
	v_mul_f64 v[42:43], v[38:39], v[4:5]
	s_mov_b32 s13, 0
	global_load_dwordx2 v[2:3], v[40:41], off
.LBB8_34:                               ;   Parent Loop BB8_13 Depth=1
                                        ;     Parent Loop BB8_15 Depth=2
                                        ; =>    This Inner Loop Header: Depth=3
	s_waitcnt vmcnt(0)
	v_add_f64 v[0:1], v[2:3], v[42:43]
	global_atomic_cmpswap_x2 v[0:1], v[40:41], v[0:3], off glc
	s_waitcnt vmcnt(0)
	v_cmp_eq_u64_e32 vcc_lo, v[0:1], v[2:3]
	v_mov_b32_e32 v3, v1
	v_mov_b32_e32 v2, v0
	s_or_b32 s13, vcc_lo, s13
	s_andn2_b32 exec_lo, exec_lo, s13
	s_cbranch_execnz .LBB8_34
; %bb.35:                               ;   in Loop: Header=BB8_15 Depth=2
	s_or_b32 exec_lo, exec_lo, s13
	v_add_co_u32 v40, vcc_lo, v50, v32
	v_add_co_ci_u32_e64 v41, null, v51, v33, vcc_lo
	v_mul_f64 v[42:43], v[38:39], v[10:11]
	s_mov_b32 s13, 0
	global_load_dwordx2 v[2:3], v[40:41], off
	;; [unrolled: 20-line block ×3, first 2 shown]
.LBB8_38:                               ;   Parent Loop BB8_13 Depth=1
                                        ;     Parent Loop BB8_15 Depth=2
                                        ; =>    This Inner Loop Header: Depth=3
	s_waitcnt vmcnt(0)
	v_add_f64 v[0:1], v[2:3], v[38:39]
	global_atomic_cmpswap_x2 v[0:1], v[40:41], v[0:3], off glc
	s_waitcnt vmcnt(0)
	v_cmp_eq_u64_e32 vcc_lo, v[0:1], v[2:3]
	v_mov_b32_e32 v3, v1
	v_mov_b32_e32 v2, v0
	s_or_b32 s13, vcc_lo, s13
	s_andn2_b32 exec_lo, exec_lo, s13
	s_cbranch_execnz .LBB8_38
; %bb.39:                               ;   in Loop: Header=BB8_15 Depth=2
	s_or_b32 exec_lo, exec_lo, s13
	v_add_co_u32 v42, vcc_lo, s11, v26
	v_add_co_ci_u32_e64 v43, null, s12, v27, vcc_lo
	v_mul_f64 v[36:37], v[36:37], v[18:19]
	v_add_co_u32 v38, vcc_lo, v42, v28
	v_add_co_ci_u32_e64 v39, null, v43, v29, vcc_lo
	s_mov_b32 s11, 0
	global_load_dwordx2 v[2:3], v[38:39], off
	v_mul_f64 v[40:41], v[36:37], v[8:9]
.LBB8_40:                               ;   Parent Loop BB8_13 Depth=1
                                        ;     Parent Loop BB8_15 Depth=2
                                        ; =>    This Inner Loop Header: Depth=3
	s_waitcnt vmcnt(0)
	v_add_f64 v[0:1], v[2:3], v[40:41]
	global_atomic_cmpswap_x2 v[0:1], v[38:39], v[0:3], off glc
	s_waitcnt vmcnt(0)
	v_cmp_eq_u64_e32 vcc_lo, v[0:1], v[2:3]
	v_mov_b32_e32 v3, v1
	v_mov_b32_e32 v2, v0
	s_or_b32 s11, vcc_lo, s11
	s_andn2_b32 exec_lo, exec_lo, s11
	s_cbranch_execnz .LBB8_40
; %bb.41:                               ;   in Loop: Header=BB8_15 Depth=2
	s_or_b32 exec_lo, exec_lo, s11
	v_add_co_u32 v38, vcc_lo, v42, v30
	v_add_co_ci_u32_e64 v39, null, v43, v31, vcc_lo
	v_mul_f64 v[40:41], v[36:37], v[4:5]
	s_mov_b32 s11, 0
	global_load_dwordx2 v[2:3], v[38:39], off
.LBB8_42:                               ;   Parent Loop BB8_13 Depth=1
                                        ;     Parent Loop BB8_15 Depth=2
                                        ; =>    This Inner Loop Header: Depth=3
	s_waitcnt vmcnt(0)
	v_add_f64 v[0:1], v[2:3], v[40:41]
	global_atomic_cmpswap_x2 v[0:1], v[38:39], v[0:3], off glc
	s_waitcnt vmcnt(0)
	v_cmp_eq_u64_e32 vcc_lo, v[0:1], v[2:3]
	v_mov_b32_e32 v3, v1
	v_mov_b32_e32 v2, v0
	s_or_b32 s11, vcc_lo, s11
	s_andn2_b32 exec_lo, exec_lo, s11
	s_cbranch_execnz .LBB8_42
; %bb.43:                               ;   in Loop: Header=BB8_15 Depth=2
	s_or_b32 exec_lo, exec_lo, s11
	v_add_co_u32 v38, vcc_lo, v42, v32
	v_add_co_ci_u32_e64 v39, null, v43, v33, vcc_lo
	v_mul_f64 v[40:41], v[36:37], v[10:11]
	s_mov_b32 s11, 0
	global_load_dwordx2 v[2:3], v[38:39], off
	;; [unrolled: 20-line block ×3, first 2 shown]
.LBB8_46:                               ;   Parent Loop BB8_13 Depth=1
                                        ;     Parent Loop BB8_15 Depth=2
                                        ; =>    This Inner Loop Header: Depth=3
	s_waitcnt vmcnt(0)
	v_add_f64 v[0:1], v[2:3], v[36:37]
	global_atomic_cmpswap_x2 v[0:1], v[38:39], v[0:3], off glc
	s_waitcnt vmcnt(0)
	v_cmp_eq_u64_e32 vcc_lo, v[0:1], v[2:3]
	v_mov_b32_e32 v3, v1
	v_mov_b32_e32 v2, v0
	s_or_b32 s11, vcc_lo, s11
	s_andn2_b32 exec_lo, exec_lo, s11
	s_cbranch_execnz .LBB8_46
; %bb.47:                               ;   in Loop: Header=BB8_15 Depth=2
	s_or_b32 exec_lo, exec_lo, s11
	s_add_i32 s9, s9, 1
	s_cmp_eq_u32 s9, s10
	s_cbranch_scc0 .LBB8_15
	s_branch .LBB8_12
.LBB8_48:
	s_waitcnt lgkmcnt(0)
	s_mov_b32 s0, 0
.LBB8_49:
	s_and_b32 vcc_lo, exec_lo, s0
	s_cbranch_vccz .LBB8_55
; %bb.50:
	s_cmp_lt_i32 s8, 1
	s_cbranch_scc1 .LBB8_55
; %bb.51:
	s_clause 0x1
	s_load_dwordx8 s[12:19], s[4:5], 0x90
	s_load_dwordx8 s[20:27], s[4:5], 0x48
	v_ashrrev_i32_e32 v4, 31, v44
	s_clause 0x1
	s_load_dwordx2 s[0:1], s[4:5], 0x20
	s_load_dwordx2 s[2:3], s[4:5], 0x68
	v_ashrrev_i32_e32 v6, 31, v45
	s_cmp_gt_i32 s10, 0
	s_mov_b32 s9, 0
	s_cselect_b32 s11, -1, 0
	s_waitcnt lgkmcnt(0)
	v_mul_lo_u32 v8, s17, v44
	v_mul_lo_u32 v9, s16, v4
	v_mad_u64_u32 v[0:1], null, s16, v44, 0
	v_mul_lo_u32 v12, s25, v44
	v_mul_lo_u32 v13, s24, v4
	v_mad_u64_u32 v[4:5], null, s24, v44, 0
	;; [unrolled: 3-line block ×4, first 2 shown]
	v_add3_u32 v1, v1, v9, v8
	v_add3_u32 v5, v5, v13, v12
	;; [unrolled: 1-line block ×3, first 2 shown]
	s_lshl_b64 s[4:5], s[12:13], 3
	s_lshl_b64 s[6:7], s[14:15], 3
	v_lshlrev_b64 v[0:1], 3, v[0:1]
	v_add3_u32 v7, v7, v15, v14
	v_lshlrev_b64 v[4:5], 3, v[4:5]
	v_lshlrev_b64 v[2:3], 3, v[2:3]
	v_add_co_u32 v0, vcc_lo, s2, v0
	v_lshlrev_b64 v[6:7], 3, v[6:7]
	v_add_co_ci_u32_e64 v1, null, s3, v1, vcc_lo
	v_add_co_u32 v4, vcc_lo, s0, v4
	v_add_co_ci_u32_e64 v5, null, s1, v5, vcc_lo
	v_add_co_u32 v0, vcc_lo, v0, v2
	;; [unrolled: 2-line block ×3, first 2 shown]
	v_add_co_ci_u32_e64 v3, null, v5, v7, vcc_lo
	s_lshl_b64 s[0:1], s[20:21], 3
	s_lshl_b64 s[2:3], s[22:23], 3
	s_inst_prefetch 0x1
	s_branch .LBB8_53
	.p2align	6
.LBB8_52:                               ;   in Loop: Header=BB8_53 Depth=1
	v_add_co_u32 v2, vcc_lo, v2, s0
	v_add_co_ci_u32_e64 v3, null, s1, v3, vcc_lo
	v_add_co_u32 v0, vcc_lo, v0, s4
	v_add_co_ci_u32_e64 v1, null, s5, v1, vcc_lo
	s_add_i32 s9, s9, 1
	s_cmp_eq_u32 s9, s8
	s_cbranch_scc1 .LBB8_55
.LBB8_53:                               ; =>This Loop Header: Depth=1
                                        ;     Child Loop BB8_54 Depth 2
	v_mov_b32_e32 v5, v1
	v_mov_b32_e32 v7, v3
	;; [unrolled: 1-line block ×4, first 2 shown]
	s_andn2_b32 vcc_lo, exec_lo, s11
	s_mov_b32 s12, s10
	s_cbranch_vccnz .LBB8_52
.LBB8_54:                               ;   Parent Loop BB8_53 Depth=1
                                        ; =>  This Inner Loop Header: Depth=2
	global_load_dwordx2 v[8:9], v[4:5], off
	v_add_co_u32 v4, vcc_lo, v4, s6
	v_add_co_ci_u32_e64 v5, null, s7, v5, vcc_lo
	s_add_i32 s12, s12, -1
	s_cmp_eq_u32 s12, 0
	s_waitcnt vmcnt(0)
	global_store_dwordx2 v[6:7], v[8:9], off
	v_add_co_u32 v6, vcc_lo, v6, s2
	v_add_co_ci_u32_e64 v7, null, s3, v7, vcc_lo
	s_cbranch_scc0 .LBB8_54
	s_branch .LBB8_52
.LBB8_55:
	s_inst_prefetch 0x2
	s_endpgm
	.section	.rodata,"a",@progbits
	.p2align	6, 0x0
	.amdhsa_kernel _ZN2at6native12_GLOBAL__N_137upsample_bicubic2d_backward_out_frameIddEEviT0_S3_bN5torch10headeronly6detail27GenericPackedTensorAccessorINS6_14TensorAccessorIN3c108ArrayRefIlEET_Lm3ENS5_16DefaultPtrTraitsElEENS_6detail16IndexBoundsCheckILm4ElEESC_Lm4ESD_lEENS7_INS8_ISB_KSC_Lm3ESD_lEESH_SJ_Lm4ESD_lEE
		.amdhsa_group_segment_fixed_size 0
		.amdhsa_private_segment_fixed_size 0
		.amdhsa_kernarg_size 432
		.amdhsa_user_sgpr_count 6
		.amdhsa_user_sgpr_private_segment_buffer 1
		.amdhsa_user_sgpr_dispatch_ptr 0
		.amdhsa_user_sgpr_queue_ptr 0
		.amdhsa_user_sgpr_kernarg_segment_ptr 1
		.amdhsa_user_sgpr_dispatch_id 0
		.amdhsa_user_sgpr_flat_scratch_init 0
		.amdhsa_user_sgpr_private_segment_size 0
		.amdhsa_wavefront_size32 1
		.amdhsa_uses_dynamic_stack 0
		.amdhsa_system_sgpr_private_segment_wavefront_offset 0
		.amdhsa_system_sgpr_workgroup_id_x 1
		.amdhsa_system_sgpr_workgroup_id_y 0
		.amdhsa_system_sgpr_workgroup_id_z 0
		.amdhsa_system_sgpr_workgroup_info 0
		.amdhsa_system_vgpr_workitem_id 0
		.amdhsa_next_free_vgpr 60
		.amdhsa_next_free_sgpr 32
		.amdhsa_reserve_vcc 1
		.amdhsa_reserve_flat_scratch 0
		.amdhsa_float_round_mode_32 0
		.amdhsa_float_round_mode_16_64 0
		.amdhsa_float_denorm_mode_32 3
		.amdhsa_float_denorm_mode_16_64 3
		.amdhsa_dx10_clamp 1
		.amdhsa_ieee_mode 1
		.amdhsa_fp16_overflow 0
		.amdhsa_workgroup_processor_mode 1
		.amdhsa_memory_ordered 1
		.amdhsa_forward_progress 1
		.amdhsa_shared_vgpr_count 0
		.amdhsa_exception_fp_ieee_invalid_op 0
		.amdhsa_exception_fp_denorm_src 0
		.amdhsa_exception_fp_ieee_div_zero 0
		.amdhsa_exception_fp_ieee_overflow 0
		.amdhsa_exception_fp_ieee_underflow 0
		.amdhsa_exception_fp_ieee_inexact 0
		.amdhsa_exception_int_div_zero 0
	.end_amdhsa_kernel
	.section	.text._ZN2at6native12_GLOBAL__N_137upsample_bicubic2d_backward_out_frameIddEEviT0_S3_bN5torch10headeronly6detail27GenericPackedTensorAccessorINS6_14TensorAccessorIN3c108ArrayRefIlEET_Lm3ENS5_16DefaultPtrTraitsElEENS_6detail16IndexBoundsCheckILm4ElEESC_Lm4ESD_lEENS7_INS8_ISB_KSC_Lm3ESD_lEESH_SJ_Lm4ESD_lEE,"axG",@progbits,_ZN2at6native12_GLOBAL__N_137upsample_bicubic2d_backward_out_frameIddEEviT0_S3_bN5torch10headeronly6detail27GenericPackedTensorAccessorINS6_14TensorAccessorIN3c108ArrayRefIlEET_Lm3ENS5_16DefaultPtrTraitsElEENS_6detail16IndexBoundsCheckILm4ElEESC_Lm4ESD_lEENS7_INS8_ISB_KSC_Lm3ESD_lEESH_SJ_Lm4ESD_lEE,comdat
.Lfunc_end8:
	.size	_ZN2at6native12_GLOBAL__N_137upsample_bicubic2d_backward_out_frameIddEEviT0_S3_bN5torch10headeronly6detail27GenericPackedTensorAccessorINS6_14TensorAccessorIN3c108ArrayRefIlEET_Lm3ENS5_16DefaultPtrTraitsElEENS_6detail16IndexBoundsCheckILm4ElEESC_Lm4ESD_lEENS7_INS8_ISB_KSC_Lm3ESD_lEESH_SJ_Lm4ESD_lEE, .Lfunc_end8-_ZN2at6native12_GLOBAL__N_137upsample_bicubic2d_backward_out_frameIddEEviT0_S3_bN5torch10headeronly6detail27GenericPackedTensorAccessorINS6_14TensorAccessorIN3c108ArrayRefIlEET_Lm3ENS5_16DefaultPtrTraitsElEENS_6detail16IndexBoundsCheckILm4ElEESC_Lm4ESD_lEENS7_INS8_ISB_KSC_Lm3ESD_lEESH_SJ_Lm4ESD_lEE
                                        ; -- End function
	.set _ZN2at6native12_GLOBAL__N_137upsample_bicubic2d_backward_out_frameIddEEviT0_S3_bN5torch10headeronly6detail27GenericPackedTensorAccessorINS6_14TensorAccessorIN3c108ArrayRefIlEET_Lm3ENS5_16DefaultPtrTraitsElEENS_6detail16IndexBoundsCheckILm4ElEESC_Lm4ESD_lEENS7_INS8_ISB_KSC_Lm3ESD_lEESH_SJ_Lm4ESD_lEE.num_vgpr, 60
	.set _ZN2at6native12_GLOBAL__N_137upsample_bicubic2d_backward_out_frameIddEEviT0_S3_bN5torch10headeronly6detail27GenericPackedTensorAccessorINS6_14TensorAccessorIN3c108ArrayRefIlEET_Lm3ENS5_16DefaultPtrTraitsElEENS_6detail16IndexBoundsCheckILm4ElEESC_Lm4ESD_lEENS7_INS8_ISB_KSC_Lm3ESD_lEESH_SJ_Lm4ESD_lEE.num_agpr, 0
	.set _ZN2at6native12_GLOBAL__N_137upsample_bicubic2d_backward_out_frameIddEEviT0_S3_bN5torch10headeronly6detail27GenericPackedTensorAccessorINS6_14TensorAccessorIN3c108ArrayRefIlEET_Lm3ENS5_16DefaultPtrTraitsElEENS_6detail16IndexBoundsCheckILm4ElEESC_Lm4ESD_lEENS7_INS8_ISB_KSC_Lm3ESD_lEESH_SJ_Lm4ESD_lEE.numbered_sgpr, 32
	.set _ZN2at6native12_GLOBAL__N_137upsample_bicubic2d_backward_out_frameIddEEviT0_S3_bN5torch10headeronly6detail27GenericPackedTensorAccessorINS6_14TensorAccessorIN3c108ArrayRefIlEET_Lm3ENS5_16DefaultPtrTraitsElEENS_6detail16IndexBoundsCheckILm4ElEESC_Lm4ESD_lEENS7_INS8_ISB_KSC_Lm3ESD_lEESH_SJ_Lm4ESD_lEE.num_named_barrier, 0
	.set _ZN2at6native12_GLOBAL__N_137upsample_bicubic2d_backward_out_frameIddEEviT0_S3_bN5torch10headeronly6detail27GenericPackedTensorAccessorINS6_14TensorAccessorIN3c108ArrayRefIlEET_Lm3ENS5_16DefaultPtrTraitsElEENS_6detail16IndexBoundsCheckILm4ElEESC_Lm4ESD_lEENS7_INS8_ISB_KSC_Lm3ESD_lEESH_SJ_Lm4ESD_lEE.private_seg_size, 0
	.set _ZN2at6native12_GLOBAL__N_137upsample_bicubic2d_backward_out_frameIddEEviT0_S3_bN5torch10headeronly6detail27GenericPackedTensorAccessorINS6_14TensorAccessorIN3c108ArrayRefIlEET_Lm3ENS5_16DefaultPtrTraitsElEENS_6detail16IndexBoundsCheckILm4ElEESC_Lm4ESD_lEENS7_INS8_ISB_KSC_Lm3ESD_lEESH_SJ_Lm4ESD_lEE.uses_vcc, 1
	.set _ZN2at6native12_GLOBAL__N_137upsample_bicubic2d_backward_out_frameIddEEviT0_S3_bN5torch10headeronly6detail27GenericPackedTensorAccessorINS6_14TensorAccessorIN3c108ArrayRefIlEET_Lm3ENS5_16DefaultPtrTraitsElEENS_6detail16IndexBoundsCheckILm4ElEESC_Lm4ESD_lEENS7_INS8_ISB_KSC_Lm3ESD_lEESH_SJ_Lm4ESD_lEE.uses_flat_scratch, 0
	.set _ZN2at6native12_GLOBAL__N_137upsample_bicubic2d_backward_out_frameIddEEviT0_S3_bN5torch10headeronly6detail27GenericPackedTensorAccessorINS6_14TensorAccessorIN3c108ArrayRefIlEET_Lm3ENS5_16DefaultPtrTraitsElEENS_6detail16IndexBoundsCheckILm4ElEESC_Lm4ESD_lEENS7_INS8_ISB_KSC_Lm3ESD_lEESH_SJ_Lm4ESD_lEE.has_dyn_sized_stack, 0
	.set _ZN2at6native12_GLOBAL__N_137upsample_bicubic2d_backward_out_frameIddEEviT0_S3_bN5torch10headeronly6detail27GenericPackedTensorAccessorINS6_14TensorAccessorIN3c108ArrayRefIlEET_Lm3ENS5_16DefaultPtrTraitsElEENS_6detail16IndexBoundsCheckILm4ElEESC_Lm4ESD_lEENS7_INS8_ISB_KSC_Lm3ESD_lEESH_SJ_Lm4ESD_lEE.has_recursion, 0
	.set _ZN2at6native12_GLOBAL__N_137upsample_bicubic2d_backward_out_frameIddEEviT0_S3_bN5torch10headeronly6detail27GenericPackedTensorAccessorINS6_14TensorAccessorIN3c108ArrayRefIlEET_Lm3ENS5_16DefaultPtrTraitsElEENS_6detail16IndexBoundsCheckILm4ElEESC_Lm4ESD_lEENS7_INS8_ISB_KSC_Lm3ESD_lEESH_SJ_Lm4ESD_lEE.has_indirect_call, 0
	.section	.AMDGPU.csdata,"",@progbits
; Kernel info:
; codeLenInByte = 3476
; TotalNumSgprs: 34
; NumVgprs: 60
; ScratchSize: 0
; MemoryBound: 0
; FloatMode: 240
; IeeeMode: 1
; LDSByteSize: 0 bytes/workgroup (compile time only)
; SGPRBlocks: 0
; VGPRBlocks: 7
; NumSGPRsForWavesPerEU: 34
; NumVGPRsForWavesPerEU: 60
; Occupancy: 16
; WaveLimiterHint : 1
; COMPUTE_PGM_RSRC2:SCRATCH_EN: 0
; COMPUTE_PGM_RSRC2:USER_SGPR: 6
; COMPUTE_PGM_RSRC2:TRAP_HANDLER: 0
; COMPUTE_PGM_RSRC2:TGID_X_EN: 1
; COMPUTE_PGM_RSRC2:TGID_Y_EN: 0
; COMPUTE_PGM_RSRC2:TGID_Z_EN: 0
; COMPUTE_PGM_RSRC2:TIDIG_COMP_CNT: 0
	.section	.text._ZN2at6native12_GLOBAL__N_137upsample_bicubic2d_backward_out_frameIffEEviT0_S3_bN5torch10headeronly6detail27GenericPackedTensorAccessorINS6_14TensorAccessorIN3c108ArrayRefIlEET_Lm3ENS5_16DefaultPtrTraitsElEENS_6detail16IndexBoundsCheckILm4ElEESC_Lm4ESD_lEENS7_INS8_ISB_KSC_Lm3ESD_lEESH_SJ_Lm4ESD_lEE,"axG",@progbits,_ZN2at6native12_GLOBAL__N_137upsample_bicubic2d_backward_out_frameIffEEviT0_S3_bN5torch10headeronly6detail27GenericPackedTensorAccessorINS6_14TensorAccessorIN3c108ArrayRefIlEET_Lm3ENS5_16DefaultPtrTraitsElEENS_6detail16IndexBoundsCheckILm4ElEESC_Lm4ESD_lEENS7_INS8_ISB_KSC_Lm3ESD_lEESH_SJ_Lm4ESD_lEE,comdat
	.globl	_ZN2at6native12_GLOBAL__N_137upsample_bicubic2d_backward_out_frameIffEEviT0_S3_bN5torch10headeronly6detail27GenericPackedTensorAccessorINS6_14TensorAccessorIN3c108ArrayRefIlEET_Lm3ENS5_16DefaultPtrTraitsElEENS_6detail16IndexBoundsCheckILm4ElEESC_Lm4ESD_lEENS7_INS8_ISB_KSC_Lm3ESD_lEESH_SJ_Lm4ESD_lEE ; -- Begin function _ZN2at6native12_GLOBAL__N_137upsample_bicubic2d_backward_out_frameIffEEviT0_S3_bN5torch10headeronly6detail27GenericPackedTensorAccessorINS6_14TensorAccessorIN3c108ArrayRefIlEET_Lm3ENS5_16DefaultPtrTraitsElEENS_6detail16IndexBoundsCheckILm4ElEESC_Lm4ESD_lEENS7_INS8_ISB_KSC_Lm3ESD_lEESH_SJ_Lm4ESD_lEE
	.p2align	8
	.type	_ZN2at6native12_GLOBAL__N_137upsample_bicubic2d_backward_out_frameIffEEviT0_S3_bN5torch10headeronly6detail27GenericPackedTensorAccessorINS6_14TensorAccessorIN3c108ArrayRefIlEET_Lm3ENS5_16DefaultPtrTraitsElEENS_6detail16IndexBoundsCheckILm4ElEESC_Lm4ESD_lEENS7_INS8_ISB_KSC_Lm3ESD_lEESH_SJ_Lm4ESD_lEE,@function
_ZN2at6native12_GLOBAL__N_137upsample_bicubic2d_backward_out_frameIffEEviT0_S3_bN5torch10headeronly6detail27GenericPackedTensorAccessorINS6_14TensorAccessorIN3c108ArrayRefIlEET_Lm3ENS5_16DefaultPtrTraitsElEENS_6detail16IndexBoundsCheckILm4ElEESC_Lm4ESD_lEENS7_INS8_ISB_KSC_Lm3ESD_lEESH_SJ_Lm4ESD_lEE: ; @_ZN2at6native12_GLOBAL__N_137upsample_bicubic2d_backward_out_frameIffEEviT0_S3_bN5torch10headeronly6detail27GenericPackedTensorAccessorINS6_14TensorAccessorIN3c108ArrayRefIlEET_Lm3ENS5_16DefaultPtrTraitsElEENS_6detail16IndexBoundsCheckILm4ElEESC_Lm4ESD_lEENS7_INS8_ISB_KSC_Lm3ESD_lEESH_SJ_Lm4ESD_lEE
; %bb.0:
	s_clause 0x1
	s_load_dword s7, s[4:5], 0xac
	s_load_dwordx4 s[0:3], s[4:5], 0x0
	s_waitcnt lgkmcnt(0)
	s_and_b32 s7, s7, 0xffff
	v_mad_u64_u32 v[0:1], null, s6, s7, v[0:1]
	v_cmp_gt_i32_e32 vcc_lo, s0, v0
	s_and_saveexec_b32 s0, vcc_lo
	s_cbranch_execz .LBB9_47
; %bb.1:
	s_load_dwordx4 s[16:19], s[4:5], 0x70
	v_sub_nc_u32_e32 v3, 0, v0
	s_load_dwordx8 s[8:15], s[4:5], 0x18
	v_max_i32_e32 v3, v0, v3
	s_waitcnt lgkmcnt(0)
	s_abs_i32 s0, s18
	v_cvt_f32_u32_e32 v1, s0
	s_sub_i32 s6, 0, s0
	s_cmp_lg_u32 s12, s16
	v_rcp_iflag_f32_e32 v1, v1
	v_mul_f32_e32 v1, 0x4f7ffffe, v1
	v_cvt_u32_f32_e32 v1, v1
	v_mul_lo_u32 v2, s6, v1
	v_mul_hi_u32 v2, v1, v2
	v_add_nc_u32_e32 v1, v1, v2
	v_mul_hi_u32 v1, v3, v1
	v_mul_lo_u32 v2, v1, s0
	v_sub_nc_u32_e32 v2, v3, v2
	v_add_nc_u32_e32 v3, 1, v1
	v_subrev_nc_u32_e32 v4, s0, v2
	v_cmp_le_u32_e32 vcc_lo, s0, v2
	v_cndmask_b32_e32 v1, v1, v3, vcc_lo
	v_cndmask_b32_e32 v2, v2, v4, vcc_lo
	v_xor_b32_e32 v3, s18, v0
	v_add_nc_u32_e32 v4, 1, v1
	v_cmp_le_u32_e32 vcc_lo, s0, v2
	v_ashrrev_i32_e32 v3, 31, v3
	s_cselect_b32 s0, -1, 0
	s_cmp_lg_u32 s14, s18
	v_cndmask_b32_e32 v1, v1, v4, vcc_lo
	s_cselect_b32 s6, -1, 0
	s_or_b32 s0, s6, s0
	v_xor_b32_e32 v1, v1, v3
	s_and_b32 vcc_lo, exec_lo, s0
	s_mov_b32 s0, -1
	v_sub_nc_u32_e32 v20, v1, v3
	v_mul_lo_u32 v1, v20, s18
	v_sub_nc_u32_e32 v21, v0, v1
	s_cbranch_vccz .LBB9_41
; %bb.2:
	s_cmp_lt_i32 s8, 1
	s_cbranch_scc1 .LBB9_40
; %bb.3:
	v_cvt_f32_i32_e32 v0, v21
	v_cvt_f32_i32_e32 v1, v20
	s_bitcmp1_b32 s3, 0
	s_load_dwordx8 s[16:23], s[4:5], 0x80
	s_cselect_b32 vcc_lo, -1, 0
	v_add_f32_e32 v2, 0.5, v0
	v_add_f32_e32 v3, 0.5, v1
	v_mul_f32_e32 v0, s2, v0
	v_mul_f32_e32 v1, s1, v1
	s_mov_b32 s0, 0xbf400000
	v_fma_f32 v2, s2, v2, -0.5
	v_fma_f32 v3, s1, v3, -0.5
	s_mov_b32 s1, 0x3fa00000
	s_load_dwordx2 s[6:7], s[4:5], 0x58
	s_cmp_gt_i32 s10, 0
	v_cndmask_b32_e32 v0, v2, v0, vcc_lo
	v_cndmask_b32_e32 v1, v3, v1, vcc_lo
	s_cselect_b32 s2, -1, 0
	s_add_i32 s3, s12, -1
	s_add_i32 s9, s14, -1
	v_floor_f32_e32 v2, v0
	v_floor_f32_e32 v3, v1
	s_waitcnt lgkmcnt(0)
	v_mul_lo_u32 v7, s21, v20
	v_cvt_i32_f32_e32 v4, v2
	v_cvt_i32_f32_e32 v5, v3
	v_ashrrev_i32_e32 v2, 31, v20
	v_cvt_f32_i32_e32 v3, v4
	v_cvt_f32_i32_e32 v6, v5
	v_mul_lo_u32 v2, s20, v2
	v_sub_f32_e32 v3, v0, v3
	v_sub_f32_e32 v6, v1, v6
	v_mad_u64_u32 v[0:1], null, s20, v20, 0
	v_add_f32_e32 v8, 1.0, v3
	v_fmaak_f32 v9, s1, v3, 0xc0100000
	v_sub_f32_e32 v10, 1.0, v3
	v_add_f32_e32 v11, 1.0, v6
	v_sub_f32_e32 v13, 1.0, v6
	v_fmaak_f32 v14, s0, v8, 0x40700000
	v_mul_f32_e32 v9, v3, v9
	v_fmaak_f32 v15, s1, v10, 0xc0100000
	v_add_f32_e32 v16, 1.0, v10
	v_fmaak_f32 v17, s0, v11, 0x40700000
	v_add_f32_e32 v19, 1.0, v13
	v_fmaak_f32 v14, v8, v14, 0xc0c00000
	v_fma_f32 v22, v3, v9, 1.0
	v_mul_f32_e32 v3, v10, v15
	v_fmaak_f32 v9, s0, v16, 0x40700000
	v_fmaak_f32 v15, v11, v17, 0xc0c00000
	v_fmaak_f32 v17, s0, v19, 0x40700000
	v_fmaak_f32 v12, s1, v6, 0xc0100000
	v_fmaak_f32 v18, s1, v13, 0xc0100000
	v_fmaak_f32 v24, v8, v14, 0x40400000
	v_fmaak_f32 v8, v16, v9, 0xc0c00000
	v_fmaak_f32 v9, v19, v17, 0xc0c00000
	v_fma_f32 v25, v10, v3, 1.0
	s_clause 0x1
	s_load_dwordx8 s[24:31], s[4:5], 0x38
	s_load_dwordx2 s[0:1], s[4:5], 0x10
	v_add_nc_u32_e32 v3, -1, v5
	v_mul_f32_e32 v12, v6, v12
	v_fmaak_f32 v28, v16, v8, 0x40400000
	v_fmaak_f32 v29, v19, v9, 0x40400000
	v_add_nc_u32_e32 v9, -1, v4
	v_min_i32_e32 v8, s3, v3
	v_add3_u32 v1, v1, v2, v7
	v_fma_f32 v23, v6, v12, 1.0
	v_mul_f32_e32 v6, v13, v18
	v_ashrrev_i32_e32 v2, 31, v21
	v_max_i32_e32 v12, 0, v8
	v_min_i32_e32 v8, s9, v9
	v_lshlrev_b64 v[0:1], 2, v[0:1]
	v_fma_f32 v27, v13, v6, 1.0
	v_mul_lo_u32 v6, s23, v21
	v_mul_lo_u32 v7, s22, v2
	v_mad_u64_u32 v[2:3], null, s22, v21, 0
	v_fmaak_f32 v26, v11, v15, 0x40400000
	v_max_i32_e32 v14, 0, v8
	v_add_nc_u32_e32 v11, 1, v4
	v_min_i32_e32 v10, s9, v4
	v_add_co_u32 v38, vcc_lo, s6, v0
	v_add_co_ci_u32_e64 v39, null, s7, v1, vcc_lo
	s_waitcnt lgkmcnt(0)
	v_mad_u64_u32 v[0:1], null, s28, v12, 0
	v_add3_u32 v3, v3, v7, v6
	v_mad_u64_u32 v[8:9], null, s30, v14, 0
	v_min_i32_e32 v6, s9, v11
	v_max_i32_e32 v7, 0, v10
	v_lshlrev_b64 v[16:17], 2, v[2:3]
	v_mad_u64_u32 v[1:2], null, s29, v12, v[1:2]
	v_max_i32_e32 v34, 0, v6
	v_mad_u64_u32 v[10:11], null, s30, v7, 0
	v_mov_b32_e32 v2, v9
	v_add_nc_u32_e32 v4, 2, v4
	v_mad_u64_u32 v[12:13], null, s30, v34, 0
	v_add_nc_u32_e32 v9, 1, v5
	v_mad_u64_u32 v[2:3], null, s31, v14, v[2:3]
	v_min_i32_e32 v6, s9, v4
	v_mov_b32_e32 v3, v11
	v_add_nc_u32_e32 v11, 2, v5
	v_min_i32_e32 v5, s3, v5
	v_mov_b32_e32 v4, v13
	v_max_i32_e32 v13, 0, v6
	v_min_i32_e32 v6, s3, v9
	v_min_i32_e32 v9, s3, v11
	v_max_i32_e32 v11, 0, v5
	v_mad_u64_u32 v[32:33], null, s31, v7, v[3:4]
	v_max_i32_e32 v35, 0, v6
	v_max_i32_e32 v36, 0, v9
	v_mad_u64_u32 v[5:6], null, s28, v11, 0
	v_mad_u64_u32 v[14:15], null, s30, v13, 0
	;; [unrolled: 1-line block ×5, first 2 shown]
	v_mov_b32_e32 v4, v6
	v_mov_b32_e32 v6, v15
	;; [unrolled: 1-line block ×3, first 2 shown]
	v_lshlrev_b64 v[0:1], 2, v[0:1]
	v_mov_b32_e32 v9, v31
	v_mad_u64_u32 v[33:34], null, s29, v11, v[4:5]
	v_mad_u64_u32 v[34:35], null, s29, v35, v[7:8]
	v_mad_u64_u32 v[35:36], null, s29, v36, v[9:10]
	v_mad_u64_u32 v[36:37], null, s31, v13, v[6:7]
	v_mov_b32_e32 v6, v33
	v_mov_b32_e32 v9, v2
	;; [unrolled: 1-line block ×7, first 2 shown]
	v_lshlrev_b64 v[2:3], 2, v[5:6]
	v_lshlrev_b64 v[8:9], 2, v[8:9]
	;; [unrolled: 1-line block ×3, first 2 shown]
	v_add_co_u32 v30, vcc_lo, v38, v16
	v_lshlrev_b64 v[4:5], 2, v[18:19]
	v_lshlrev_b64 v[10:11], 2, v[10:11]
	;; [unrolled: 1-line block ×4, first 2 shown]
	v_add_co_ci_u32_e64 v31, null, v39, v17, vcc_lo
	s_mov_b32 s3, 0
	s_branch .LBB9_5
.LBB9_4:                                ;   in Loop: Header=BB9_5 Depth=1
	s_add_i32 s3, s3, 1
	s_cmp_eq_u32 s3, s8
	s_cbranch_scc1 .LBB9_40
.LBB9_5:                                ; =>This Loop Header: Depth=1
                                        ;     Child Loop BB9_7 Depth 2
                                        ;       Child Loop BB9_8 Depth 3
                                        ;       Child Loop BB9_10 Depth 3
                                        ;       Child Loop BB9_12 Depth 3
                                        ;       Child Loop BB9_14 Depth 3
                                        ;       Child Loop BB9_16 Depth 3
                                        ;       Child Loop BB9_18 Depth 3
                                        ;       Child Loop BB9_20 Depth 3
                                        ;       Child Loop BB9_22 Depth 3
                                        ;       Child Loop BB9_24 Depth 3
                                        ;       Child Loop BB9_26 Depth 3
                                        ;       Child Loop BB9_28 Depth 3
                                        ;       Child Loop BB9_30 Depth 3
                                        ;       Child Loop BB9_32 Depth 3
                                        ;       Child Loop BB9_34 Depth 3
                                        ;       Child Loop BB9_36 Depth 3
                                        ;       Child Loop BB9_38 Depth 3
	s_andn2_b32 vcc_lo, exec_lo, s2
	s_cbranch_vccnz .LBB9_4
; %bb.6:                                ;   in Loop: Header=BB9_5 Depth=1
	s_mul_i32 s6, s17, s3
	s_mul_hi_u32 s7, s16, s3
	s_mul_i32 s9, s25, s3
	s_add_i32 s7, s7, s6
	s_mul_i32 s6, s16, s3
	s_mul_hi_u32 s11, s24, s3
	s_lshl_b64 s[6:7], s[6:7], 2
	s_add_i32 s13, s11, s9
	s_mul_i32 s12, s24, s3
	v_add_co_u32 v32, vcc_lo, v30, s6
	s_lshl_b64 s[12:13], s[12:13], 2
	v_add_co_ci_u32_e64 v33, null, s7, v31, vcc_lo
	s_add_u32 s6, s0, s12
	s_addc_u32 s7, s1, s13
	s_mov_b32 s9, 0
.LBB9_7:                                ;   Parent Loop BB9_5 Depth=1
                                        ; =>  This Loop Header: Depth=2
                                        ;       Child Loop BB9_8 Depth 3
                                        ;       Child Loop BB9_10 Depth 3
	;; [unrolled: 1-line block ×16, first 2 shown]
	s_mul_i32 s11, s19, s9
	s_mul_hi_u32 s13, s18, s9
	s_mul_i32 s12, s18, s9
	s_add_i32 s13, s13, s11
	s_mul_i32 s11, s27, s9
	s_lshl_b64 s[12:13], s[12:13], 2
	s_mul_hi_u32 s14, s26, s9
	v_add_co_u32 v16, vcc_lo, v32, s12
	v_add_co_ci_u32_e64 v17, null, s13, v33, vcc_lo
	s_add_i32 s13, s14, s11
	s_mul_i32 s12, s26, s9
	s_lshl_b64 s[12:13], s[12:13], 2
	global_load_dword v34, v[16:17], off
	s_add_u32 s11, s6, s12
	s_addc_u32 s12, s7, s13
	v_add_co_u32 v35, vcc_lo, s11, v0
	v_add_co_ci_u32_e64 v36, null, s12, v1, vcc_lo
	s_mov_b32 s13, 0
	v_add_co_u32 v16, vcc_lo, v35, v8
	v_add_co_ci_u32_e64 v17, null, v36, v9, vcc_lo
	global_load_dword v19, v[16:17], off
	s_waitcnt vmcnt(1)
	v_mul_f32_e32 v37, v34, v26
	v_mul_f32_e32 v38, v37, v24
.LBB9_8:                                ;   Parent Loop BB9_5 Depth=1
                                        ;     Parent Loop BB9_7 Depth=2
                                        ; =>    This Inner Loop Header: Depth=3
	s_waitcnt vmcnt(0)
	v_add_f32_e32 v18, v19, v38
	global_atomic_cmpswap v18, v[16:17], v[18:19], off glc
	s_waitcnt vmcnt(0)
	v_cmp_eq_u32_e32 vcc_lo, v18, v19
	v_mov_b32_e32 v19, v18
	s_or_b32 s13, vcc_lo, s13
	s_andn2_b32 exec_lo, exec_lo, s13
	s_cbranch_execnz .LBB9_8
; %bb.9:                                ;   in Loop: Header=BB9_7 Depth=2
	s_or_b32 exec_lo, exec_lo, s13
	v_add_co_u32 v16, vcc_lo, v35, v10
	v_add_co_ci_u32_e64 v17, null, v36, v11, vcc_lo
	v_mul_f32_e32 v38, v37, v22
	s_mov_b32 s13, 0
	global_load_dword v19, v[16:17], off
.LBB9_10:                               ;   Parent Loop BB9_5 Depth=1
                                        ;     Parent Loop BB9_7 Depth=2
                                        ; =>    This Inner Loop Header: Depth=3
	s_waitcnt vmcnt(0)
	v_add_f32_e32 v18, v19, v38
	global_atomic_cmpswap v18, v[16:17], v[18:19], off glc
	s_waitcnt vmcnt(0)
	v_cmp_eq_u32_e32 vcc_lo, v18, v19
	v_mov_b32_e32 v19, v18
	s_or_b32 s13, vcc_lo, s13
	s_andn2_b32 exec_lo, exec_lo, s13
	s_cbranch_execnz .LBB9_10
; %bb.11:                               ;   in Loop: Header=BB9_7 Depth=2
	s_or_b32 exec_lo, exec_lo, s13
	v_add_co_u32 v16, vcc_lo, v35, v12
	v_add_co_ci_u32_e64 v17, null, v36, v13, vcc_lo
	v_mul_f32_e32 v38, v37, v25
	s_mov_b32 s13, 0
	global_load_dword v19, v[16:17], off
.LBB9_12:                               ;   Parent Loop BB9_5 Depth=1
                                        ;     Parent Loop BB9_7 Depth=2
                                        ; =>    This Inner Loop Header: Depth=3
	s_waitcnt vmcnt(0)
	v_add_f32_e32 v18, v19, v38
	global_atomic_cmpswap v18, v[16:17], v[18:19], off glc
	s_waitcnt vmcnt(0)
	v_cmp_eq_u32_e32 vcc_lo, v18, v19
	v_mov_b32_e32 v19, v18
	s_or_b32 s13, vcc_lo, s13
	s_andn2_b32 exec_lo, exec_lo, s13
	s_cbranch_execnz .LBB9_12
; %bb.13:                               ;   in Loop: Header=BB9_7 Depth=2
	;; [unrolled: 19-line block ×3, first 2 shown]
	s_or_b32 exec_lo, exec_lo, s13
	v_add_co_u32 v35, vcc_lo, s11, v2
	v_add_co_ci_u32_e64 v36, null, s12, v3, vcc_lo
	v_mul_f32_e32 v37, v34, v23
	v_add_co_u32 v16, vcc_lo, v35, v8
	v_add_co_ci_u32_e64 v17, null, v36, v9, vcc_lo
	v_mul_f32_e32 v38, v37, v24
	s_mov_b32 s13, 0
	global_load_dword v19, v[16:17], off
.LBB9_16:                               ;   Parent Loop BB9_5 Depth=1
                                        ;     Parent Loop BB9_7 Depth=2
                                        ; =>    This Inner Loop Header: Depth=3
	s_waitcnt vmcnt(0)
	v_add_f32_e32 v18, v19, v38
	global_atomic_cmpswap v18, v[16:17], v[18:19], off glc
	s_waitcnt vmcnt(0)
	v_cmp_eq_u32_e32 vcc_lo, v18, v19
	v_mov_b32_e32 v19, v18
	s_or_b32 s13, vcc_lo, s13
	s_andn2_b32 exec_lo, exec_lo, s13
	s_cbranch_execnz .LBB9_16
; %bb.17:                               ;   in Loop: Header=BB9_7 Depth=2
	s_or_b32 exec_lo, exec_lo, s13
	v_add_co_u32 v16, vcc_lo, v35, v10
	v_add_co_ci_u32_e64 v17, null, v36, v11, vcc_lo
	v_mul_f32_e32 v38, v37, v22
	s_mov_b32 s13, 0
	global_load_dword v19, v[16:17], off
.LBB9_18:                               ;   Parent Loop BB9_5 Depth=1
                                        ;     Parent Loop BB9_7 Depth=2
                                        ; =>    This Inner Loop Header: Depth=3
	s_waitcnt vmcnt(0)
	v_add_f32_e32 v18, v19, v38
	global_atomic_cmpswap v18, v[16:17], v[18:19], off glc
	s_waitcnt vmcnt(0)
	v_cmp_eq_u32_e32 vcc_lo, v18, v19
	v_mov_b32_e32 v19, v18
	s_or_b32 s13, vcc_lo, s13
	s_andn2_b32 exec_lo, exec_lo, s13
	s_cbranch_execnz .LBB9_18
; %bb.19:                               ;   in Loop: Header=BB9_7 Depth=2
	s_or_b32 exec_lo, exec_lo, s13
	;; [unrolled: 19-line block ×4, first 2 shown]
	v_add_co_u32 v35, vcc_lo, s11, v4
	v_add_co_ci_u32_e64 v36, null, s12, v5, vcc_lo
	v_mul_f32_e32 v37, v34, v27
	v_add_co_u32 v16, vcc_lo, v35, v8
	v_add_co_ci_u32_e64 v17, null, v36, v9, vcc_lo
	v_mul_f32_e32 v38, v37, v24
	s_mov_b32 s13, 0
	global_load_dword v19, v[16:17], off
.LBB9_24:                               ;   Parent Loop BB9_5 Depth=1
                                        ;     Parent Loop BB9_7 Depth=2
                                        ; =>    This Inner Loop Header: Depth=3
	s_waitcnt vmcnt(0)
	v_add_f32_e32 v18, v19, v38
	global_atomic_cmpswap v18, v[16:17], v[18:19], off glc
	s_waitcnt vmcnt(0)
	v_cmp_eq_u32_e32 vcc_lo, v18, v19
	v_mov_b32_e32 v19, v18
	s_or_b32 s13, vcc_lo, s13
	s_andn2_b32 exec_lo, exec_lo, s13
	s_cbranch_execnz .LBB9_24
; %bb.25:                               ;   in Loop: Header=BB9_7 Depth=2
	s_or_b32 exec_lo, exec_lo, s13
	v_add_co_u32 v16, vcc_lo, v35, v10
	v_add_co_ci_u32_e64 v17, null, v36, v11, vcc_lo
	v_mul_f32_e32 v38, v37, v22
	s_mov_b32 s13, 0
	global_load_dword v19, v[16:17], off
.LBB9_26:                               ;   Parent Loop BB9_5 Depth=1
                                        ;     Parent Loop BB9_7 Depth=2
                                        ; =>    This Inner Loop Header: Depth=3
	s_waitcnt vmcnt(0)
	v_add_f32_e32 v18, v19, v38
	global_atomic_cmpswap v18, v[16:17], v[18:19], off glc
	s_waitcnt vmcnt(0)
	v_cmp_eq_u32_e32 vcc_lo, v18, v19
	v_mov_b32_e32 v19, v18
	s_or_b32 s13, vcc_lo, s13
	s_andn2_b32 exec_lo, exec_lo, s13
	s_cbranch_execnz .LBB9_26
; %bb.27:                               ;   in Loop: Header=BB9_7 Depth=2
	s_or_b32 exec_lo, exec_lo, s13
	;; [unrolled: 19-line block ×4, first 2 shown]
	v_add_co_u32 v35, vcc_lo, s11, v6
	v_add_co_ci_u32_e64 v36, null, s12, v7, vcc_lo
	v_mul_f32_e32 v34, v34, v29
	v_add_co_u32 v16, vcc_lo, v35, v8
	v_add_co_ci_u32_e64 v17, null, v36, v9, vcc_lo
	v_mul_f32_e32 v37, v34, v24
	s_mov_b32 s11, 0
	global_load_dword v19, v[16:17], off
.LBB9_32:                               ;   Parent Loop BB9_5 Depth=1
                                        ;     Parent Loop BB9_7 Depth=2
                                        ; =>    This Inner Loop Header: Depth=3
	s_waitcnt vmcnt(0)
	v_add_f32_e32 v18, v19, v37
	global_atomic_cmpswap v18, v[16:17], v[18:19], off glc
	s_waitcnt vmcnt(0)
	v_cmp_eq_u32_e32 vcc_lo, v18, v19
	v_mov_b32_e32 v19, v18
	s_or_b32 s11, vcc_lo, s11
	s_andn2_b32 exec_lo, exec_lo, s11
	s_cbranch_execnz .LBB9_32
; %bb.33:                               ;   in Loop: Header=BB9_7 Depth=2
	s_or_b32 exec_lo, exec_lo, s11
	v_add_co_u32 v16, vcc_lo, v35, v10
	v_add_co_ci_u32_e64 v17, null, v36, v11, vcc_lo
	v_mul_f32_e32 v37, v34, v22
	s_mov_b32 s11, 0
	global_load_dword v19, v[16:17], off
.LBB9_34:                               ;   Parent Loop BB9_5 Depth=1
                                        ;     Parent Loop BB9_7 Depth=2
                                        ; =>    This Inner Loop Header: Depth=3
	s_waitcnt vmcnt(0)
	v_add_f32_e32 v18, v19, v37
	global_atomic_cmpswap v18, v[16:17], v[18:19], off glc
	s_waitcnt vmcnt(0)
	v_cmp_eq_u32_e32 vcc_lo, v18, v19
	v_mov_b32_e32 v19, v18
	s_or_b32 s11, vcc_lo, s11
	s_andn2_b32 exec_lo, exec_lo, s11
	s_cbranch_execnz .LBB9_34
; %bb.35:                               ;   in Loop: Header=BB9_7 Depth=2
	s_or_b32 exec_lo, exec_lo, s11
	;; [unrolled: 19-line block ×4, first 2 shown]
	s_add_i32 s9, s9, 1
	s_cmp_eq_u32 s9, s10
	s_cbranch_scc0 .LBB9_7
	s_branch .LBB9_4
.LBB9_40:
	s_mov_b32 s0, 0
.LBB9_41:
	s_andn2_b32 vcc_lo, exec_lo, s0
	s_cbranch_vccnz .LBB9_47
; %bb.42:
	s_cmp_lt_i32 s8, 1
	s_cbranch_scc1 .LBB9_47
; %bb.43:
	s_clause 0x1
	s_load_dwordx8 s[12:19], s[4:5], 0x80
	s_load_dwordx8 s[20:27], s[4:5], 0x38
	v_ashrrev_i32_e32 v4, 31, v20
	s_clause 0x1
	s_load_dwordx2 s[0:1], s[4:5], 0x10
	s_load_dwordx2 s[2:3], s[4:5], 0x58
	v_ashrrev_i32_e32 v6, 31, v21
	s_cmp_gt_i32 s10, 0
	s_mov_b32 s9, 0
	s_cselect_b32 s11, -1, 0
	s_waitcnt lgkmcnt(0)
	v_mul_lo_u32 v8, s17, v20
	v_mul_lo_u32 v9, s16, v4
	v_mad_u64_u32 v[0:1], null, s16, v20, 0
	v_mul_lo_u32 v12, s25, v20
	v_mul_lo_u32 v13, s24, v4
	v_mad_u64_u32 v[4:5], null, s24, v20, 0
	;; [unrolled: 3-line block ×4, first 2 shown]
	v_add3_u32 v1, v1, v9, v8
	v_add3_u32 v5, v5, v13, v12
	;; [unrolled: 1-line block ×3, first 2 shown]
	s_lshl_b64 s[4:5], s[12:13], 2
	s_lshl_b64 s[6:7], s[14:15], 2
	v_lshlrev_b64 v[0:1], 2, v[0:1]
	v_add3_u32 v7, v7, v15, v14
	v_lshlrev_b64 v[4:5], 2, v[4:5]
	v_lshlrev_b64 v[2:3], 2, v[2:3]
	v_add_co_u32 v0, vcc_lo, s2, v0
	v_lshlrev_b64 v[6:7], 2, v[6:7]
	v_add_co_ci_u32_e64 v1, null, s3, v1, vcc_lo
	v_add_co_u32 v4, vcc_lo, s0, v4
	v_add_co_ci_u32_e64 v5, null, s1, v5, vcc_lo
	v_add_co_u32 v0, vcc_lo, v0, v2
	;; [unrolled: 2-line block ×3, first 2 shown]
	v_add_co_ci_u32_e64 v3, null, v5, v7, vcc_lo
	s_lshl_b64 s[0:1], s[20:21], 2
	s_lshl_b64 s[2:3], s[22:23], 2
	s_inst_prefetch 0x1
	s_branch .LBB9_45
	.p2align	6
.LBB9_44:                               ;   in Loop: Header=BB9_45 Depth=1
	v_add_co_u32 v2, vcc_lo, v2, s0
	v_add_co_ci_u32_e64 v3, null, s1, v3, vcc_lo
	v_add_co_u32 v0, vcc_lo, v0, s4
	v_add_co_ci_u32_e64 v1, null, s5, v1, vcc_lo
	s_add_i32 s9, s9, 1
	s_cmp_eq_u32 s9, s8
	s_cbranch_scc1 .LBB9_47
.LBB9_45:                               ; =>This Loop Header: Depth=1
                                        ;     Child Loop BB9_46 Depth 2
	v_mov_b32_e32 v5, v1
	v_mov_b32_e32 v7, v3
	;; [unrolled: 1-line block ×4, first 2 shown]
	s_andn2_b32 vcc_lo, exec_lo, s11
	s_mov_b32 s12, s10
	s_cbranch_vccnz .LBB9_44
.LBB9_46:                               ;   Parent Loop BB9_45 Depth=1
                                        ; =>  This Inner Loop Header: Depth=2
	global_load_dword v8, v[4:5], off
	v_add_co_u32 v4, vcc_lo, v4, s6
	v_add_co_ci_u32_e64 v5, null, s7, v5, vcc_lo
	s_add_i32 s12, s12, -1
	s_cmp_eq_u32 s12, 0
	s_waitcnt vmcnt(0)
	global_store_dword v[6:7], v8, off
	v_add_co_u32 v6, vcc_lo, v6, s2
	v_add_co_ci_u32_e64 v7, null, s3, v7, vcc_lo
	s_cbranch_scc0 .LBB9_46
	s_branch .LBB9_44
.LBB9_47:
	s_inst_prefetch 0x2
	s_endpgm
	.section	.rodata,"a",@progbits
	.p2align	6, 0x0
	.amdhsa_kernel _ZN2at6native12_GLOBAL__N_137upsample_bicubic2d_backward_out_frameIffEEviT0_S3_bN5torch10headeronly6detail27GenericPackedTensorAccessorINS6_14TensorAccessorIN3c108ArrayRefIlEET_Lm3ENS5_16DefaultPtrTraitsElEENS_6detail16IndexBoundsCheckILm4ElEESC_Lm4ESD_lEENS7_INS8_ISB_KSC_Lm3ESD_lEESH_SJ_Lm4ESD_lEE
		.amdhsa_group_segment_fixed_size 0
		.amdhsa_private_segment_fixed_size 0
		.amdhsa_kernarg_size 416
		.amdhsa_user_sgpr_count 6
		.amdhsa_user_sgpr_private_segment_buffer 1
		.amdhsa_user_sgpr_dispatch_ptr 0
		.amdhsa_user_sgpr_queue_ptr 0
		.amdhsa_user_sgpr_kernarg_segment_ptr 1
		.amdhsa_user_sgpr_dispatch_id 0
		.amdhsa_user_sgpr_flat_scratch_init 0
		.amdhsa_user_sgpr_private_segment_size 0
		.amdhsa_wavefront_size32 1
		.amdhsa_uses_dynamic_stack 0
		.amdhsa_system_sgpr_private_segment_wavefront_offset 0
		.amdhsa_system_sgpr_workgroup_id_x 1
		.amdhsa_system_sgpr_workgroup_id_y 0
		.amdhsa_system_sgpr_workgroup_id_z 0
		.amdhsa_system_sgpr_workgroup_info 0
		.amdhsa_system_vgpr_workitem_id 0
		.amdhsa_next_free_vgpr 40
		.amdhsa_next_free_sgpr 32
		.amdhsa_reserve_vcc 1
		.amdhsa_reserve_flat_scratch 0
		.amdhsa_float_round_mode_32 0
		.amdhsa_float_round_mode_16_64 0
		.amdhsa_float_denorm_mode_32 3
		.amdhsa_float_denorm_mode_16_64 3
		.amdhsa_dx10_clamp 1
		.amdhsa_ieee_mode 1
		.amdhsa_fp16_overflow 0
		.amdhsa_workgroup_processor_mode 1
		.amdhsa_memory_ordered 1
		.amdhsa_forward_progress 1
		.amdhsa_shared_vgpr_count 0
		.amdhsa_exception_fp_ieee_invalid_op 0
		.amdhsa_exception_fp_denorm_src 0
		.amdhsa_exception_fp_ieee_div_zero 0
		.amdhsa_exception_fp_ieee_overflow 0
		.amdhsa_exception_fp_ieee_underflow 0
		.amdhsa_exception_fp_ieee_inexact 0
		.amdhsa_exception_int_div_zero 0
	.end_amdhsa_kernel
	.section	.text._ZN2at6native12_GLOBAL__N_137upsample_bicubic2d_backward_out_frameIffEEviT0_S3_bN5torch10headeronly6detail27GenericPackedTensorAccessorINS6_14TensorAccessorIN3c108ArrayRefIlEET_Lm3ENS5_16DefaultPtrTraitsElEENS_6detail16IndexBoundsCheckILm4ElEESC_Lm4ESD_lEENS7_INS8_ISB_KSC_Lm3ESD_lEESH_SJ_Lm4ESD_lEE,"axG",@progbits,_ZN2at6native12_GLOBAL__N_137upsample_bicubic2d_backward_out_frameIffEEviT0_S3_bN5torch10headeronly6detail27GenericPackedTensorAccessorINS6_14TensorAccessorIN3c108ArrayRefIlEET_Lm3ENS5_16DefaultPtrTraitsElEENS_6detail16IndexBoundsCheckILm4ElEESC_Lm4ESD_lEENS7_INS8_ISB_KSC_Lm3ESD_lEESH_SJ_Lm4ESD_lEE,comdat
.Lfunc_end9:
	.size	_ZN2at6native12_GLOBAL__N_137upsample_bicubic2d_backward_out_frameIffEEviT0_S3_bN5torch10headeronly6detail27GenericPackedTensorAccessorINS6_14TensorAccessorIN3c108ArrayRefIlEET_Lm3ENS5_16DefaultPtrTraitsElEENS_6detail16IndexBoundsCheckILm4ElEESC_Lm4ESD_lEENS7_INS8_ISB_KSC_Lm3ESD_lEESH_SJ_Lm4ESD_lEE, .Lfunc_end9-_ZN2at6native12_GLOBAL__N_137upsample_bicubic2d_backward_out_frameIffEEviT0_S3_bN5torch10headeronly6detail27GenericPackedTensorAccessorINS6_14TensorAccessorIN3c108ArrayRefIlEET_Lm3ENS5_16DefaultPtrTraitsElEENS_6detail16IndexBoundsCheckILm4ElEESC_Lm4ESD_lEENS7_INS8_ISB_KSC_Lm3ESD_lEESH_SJ_Lm4ESD_lEE
                                        ; -- End function
	.set _ZN2at6native12_GLOBAL__N_137upsample_bicubic2d_backward_out_frameIffEEviT0_S3_bN5torch10headeronly6detail27GenericPackedTensorAccessorINS6_14TensorAccessorIN3c108ArrayRefIlEET_Lm3ENS5_16DefaultPtrTraitsElEENS_6detail16IndexBoundsCheckILm4ElEESC_Lm4ESD_lEENS7_INS8_ISB_KSC_Lm3ESD_lEESH_SJ_Lm4ESD_lEE.num_vgpr, 40
	.set _ZN2at6native12_GLOBAL__N_137upsample_bicubic2d_backward_out_frameIffEEviT0_S3_bN5torch10headeronly6detail27GenericPackedTensorAccessorINS6_14TensorAccessorIN3c108ArrayRefIlEET_Lm3ENS5_16DefaultPtrTraitsElEENS_6detail16IndexBoundsCheckILm4ElEESC_Lm4ESD_lEENS7_INS8_ISB_KSC_Lm3ESD_lEESH_SJ_Lm4ESD_lEE.num_agpr, 0
	.set _ZN2at6native12_GLOBAL__N_137upsample_bicubic2d_backward_out_frameIffEEviT0_S3_bN5torch10headeronly6detail27GenericPackedTensorAccessorINS6_14TensorAccessorIN3c108ArrayRefIlEET_Lm3ENS5_16DefaultPtrTraitsElEENS_6detail16IndexBoundsCheckILm4ElEESC_Lm4ESD_lEENS7_INS8_ISB_KSC_Lm3ESD_lEESH_SJ_Lm4ESD_lEE.numbered_sgpr, 32
	.set _ZN2at6native12_GLOBAL__N_137upsample_bicubic2d_backward_out_frameIffEEviT0_S3_bN5torch10headeronly6detail27GenericPackedTensorAccessorINS6_14TensorAccessorIN3c108ArrayRefIlEET_Lm3ENS5_16DefaultPtrTraitsElEENS_6detail16IndexBoundsCheckILm4ElEESC_Lm4ESD_lEENS7_INS8_ISB_KSC_Lm3ESD_lEESH_SJ_Lm4ESD_lEE.num_named_barrier, 0
	.set _ZN2at6native12_GLOBAL__N_137upsample_bicubic2d_backward_out_frameIffEEviT0_S3_bN5torch10headeronly6detail27GenericPackedTensorAccessorINS6_14TensorAccessorIN3c108ArrayRefIlEET_Lm3ENS5_16DefaultPtrTraitsElEENS_6detail16IndexBoundsCheckILm4ElEESC_Lm4ESD_lEENS7_INS8_ISB_KSC_Lm3ESD_lEESH_SJ_Lm4ESD_lEE.private_seg_size, 0
	.set _ZN2at6native12_GLOBAL__N_137upsample_bicubic2d_backward_out_frameIffEEviT0_S3_bN5torch10headeronly6detail27GenericPackedTensorAccessorINS6_14TensorAccessorIN3c108ArrayRefIlEET_Lm3ENS5_16DefaultPtrTraitsElEENS_6detail16IndexBoundsCheckILm4ElEESC_Lm4ESD_lEENS7_INS8_ISB_KSC_Lm3ESD_lEESH_SJ_Lm4ESD_lEE.uses_vcc, 1
	.set _ZN2at6native12_GLOBAL__N_137upsample_bicubic2d_backward_out_frameIffEEviT0_S3_bN5torch10headeronly6detail27GenericPackedTensorAccessorINS6_14TensorAccessorIN3c108ArrayRefIlEET_Lm3ENS5_16DefaultPtrTraitsElEENS_6detail16IndexBoundsCheckILm4ElEESC_Lm4ESD_lEENS7_INS8_ISB_KSC_Lm3ESD_lEESH_SJ_Lm4ESD_lEE.uses_flat_scratch, 0
	.set _ZN2at6native12_GLOBAL__N_137upsample_bicubic2d_backward_out_frameIffEEviT0_S3_bN5torch10headeronly6detail27GenericPackedTensorAccessorINS6_14TensorAccessorIN3c108ArrayRefIlEET_Lm3ENS5_16DefaultPtrTraitsElEENS_6detail16IndexBoundsCheckILm4ElEESC_Lm4ESD_lEENS7_INS8_ISB_KSC_Lm3ESD_lEESH_SJ_Lm4ESD_lEE.has_dyn_sized_stack, 0
	.set _ZN2at6native12_GLOBAL__N_137upsample_bicubic2d_backward_out_frameIffEEviT0_S3_bN5torch10headeronly6detail27GenericPackedTensorAccessorINS6_14TensorAccessorIN3c108ArrayRefIlEET_Lm3ENS5_16DefaultPtrTraitsElEENS_6detail16IndexBoundsCheckILm4ElEESC_Lm4ESD_lEENS7_INS8_ISB_KSC_Lm3ESD_lEESH_SJ_Lm4ESD_lEE.has_recursion, 0
	.set _ZN2at6native12_GLOBAL__N_137upsample_bicubic2d_backward_out_frameIffEEviT0_S3_bN5torch10headeronly6detail27GenericPackedTensorAccessorINS6_14TensorAccessorIN3c108ArrayRefIlEET_Lm3ENS5_16DefaultPtrTraitsElEENS_6detail16IndexBoundsCheckILm4ElEESC_Lm4ESD_lEENS7_INS8_ISB_KSC_Lm3ESD_lEESH_SJ_Lm4ESD_lEE.has_indirect_call, 0
	.section	.AMDGPU.csdata,"",@progbits
; Kernel info:
; codeLenInByte = 3092
; TotalNumSgprs: 34
; NumVgprs: 40
; ScratchSize: 0
; MemoryBound: 0
; FloatMode: 240
; IeeeMode: 1
; LDSByteSize: 0 bytes/workgroup (compile time only)
; SGPRBlocks: 0
; VGPRBlocks: 4
; NumSGPRsForWavesPerEU: 34
; NumVGPRsForWavesPerEU: 40
; Occupancy: 16
; WaveLimiterHint : 1
; COMPUTE_PGM_RSRC2:SCRATCH_EN: 0
; COMPUTE_PGM_RSRC2:USER_SGPR: 6
; COMPUTE_PGM_RSRC2:TRAP_HANDLER: 0
; COMPUTE_PGM_RSRC2:TGID_X_EN: 1
; COMPUTE_PGM_RSRC2:TGID_Y_EN: 0
; COMPUTE_PGM_RSRC2:TGID_Z_EN: 0
; COMPUTE_PGM_RSRC2:TIDIG_COMP_CNT: 0
	.section	.text._ZN2at6native12_GLOBAL__N_137upsample_bicubic2d_backward_out_frameIN3c104HalfEfEEviT0_S5_bN5torch10headeronly6detail27GenericPackedTensorAccessorINS8_14TensorAccessorINS3_8ArrayRefIlEET_Lm3ENS7_16DefaultPtrTraitsElEENS_6detail16IndexBoundsCheckILm4ElEESD_Lm4ESE_lEENS9_INSA_ISC_KSD_Lm3ESE_lEESI_SK_Lm4ESE_lEE,"axG",@progbits,_ZN2at6native12_GLOBAL__N_137upsample_bicubic2d_backward_out_frameIN3c104HalfEfEEviT0_S5_bN5torch10headeronly6detail27GenericPackedTensorAccessorINS8_14TensorAccessorINS3_8ArrayRefIlEET_Lm3ENS7_16DefaultPtrTraitsElEENS_6detail16IndexBoundsCheckILm4ElEESD_Lm4ESE_lEENS9_INSA_ISC_KSD_Lm3ESE_lEESI_SK_Lm4ESE_lEE,comdat
	.globl	_ZN2at6native12_GLOBAL__N_137upsample_bicubic2d_backward_out_frameIN3c104HalfEfEEviT0_S5_bN5torch10headeronly6detail27GenericPackedTensorAccessorINS8_14TensorAccessorINS3_8ArrayRefIlEET_Lm3ENS7_16DefaultPtrTraitsElEENS_6detail16IndexBoundsCheckILm4ElEESD_Lm4ESE_lEENS9_INSA_ISC_KSD_Lm3ESE_lEESI_SK_Lm4ESE_lEE ; -- Begin function _ZN2at6native12_GLOBAL__N_137upsample_bicubic2d_backward_out_frameIN3c104HalfEfEEviT0_S5_bN5torch10headeronly6detail27GenericPackedTensorAccessorINS8_14TensorAccessorINS3_8ArrayRefIlEET_Lm3ENS7_16DefaultPtrTraitsElEENS_6detail16IndexBoundsCheckILm4ElEESD_Lm4ESE_lEENS9_INSA_ISC_KSD_Lm3ESE_lEESI_SK_Lm4ESE_lEE
	.p2align	8
	.type	_ZN2at6native12_GLOBAL__N_137upsample_bicubic2d_backward_out_frameIN3c104HalfEfEEviT0_S5_bN5torch10headeronly6detail27GenericPackedTensorAccessorINS8_14TensorAccessorINS3_8ArrayRefIlEET_Lm3ENS7_16DefaultPtrTraitsElEENS_6detail16IndexBoundsCheckILm4ElEESD_Lm4ESE_lEENS9_INSA_ISC_KSD_Lm3ESE_lEESI_SK_Lm4ESE_lEE,@function
_ZN2at6native12_GLOBAL__N_137upsample_bicubic2d_backward_out_frameIN3c104HalfEfEEviT0_S5_bN5torch10headeronly6detail27GenericPackedTensorAccessorINS8_14TensorAccessorINS3_8ArrayRefIlEET_Lm3ENS7_16DefaultPtrTraitsElEENS_6detail16IndexBoundsCheckILm4ElEESD_Lm4ESE_lEENS9_INSA_ISC_KSD_Lm3ESE_lEESI_SK_Lm4ESE_lEE: ; @_ZN2at6native12_GLOBAL__N_137upsample_bicubic2d_backward_out_frameIN3c104HalfEfEEviT0_S5_bN5torch10headeronly6detail27GenericPackedTensorAccessorINS8_14TensorAccessorINS3_8ArrayRefIlEET_Lm3ENS7_16DefaultPtrTraitsElEENS_6detail16IndexBoundsCheckILm4ElEESD_Lm4ESE_lEENS9_INSA_ISC_KSD_Lm3ESE_lEESI_SK_Lm4ESE_lEE
; %bb.0:
	s_clause 0x1
	s_load_dword s7, s[4:5], 0xac
	s_load_dwordx4 s[0:3], s[4:5], 0x0
	s_waitcnt lgkmcnt(0)
	s_and_b32 s7, s7, 0xffff
	v_mad_u64_u32 v[0:1], null, s6, s7, v[0:1]
	v_cmp_gt_i32_e32 vcc_lo, s0, v0
	s_and_saveexec_b32 s0, vcc_lo
	s_cbranch_execz .LBB10_41
; %bb.1:
	s_load_dwordx4 s[16:19], s[4:5], 0x70
	v_sub_nc_u32_e32 v3, 0, v0
	s_load_dwordx8 s[8:15], s[4:5], 0x18
	v_max_i32_e32 v3, v0, v3
	s_waitcnt lgkmcnt(0)
	s_abs_i32 s0, s18
	v_cvt_f32_u32_e32 v1, s0
	s_sub_i32 s6, 0, s0
	s_cmp_lg_u32 s12, s16
	v_rcp_iflag_f32_e32 v1, v1
	v_mul_f32_e32 v1, 0x4f7ffffe, v1
	v_cvt_u32_f32_e32 v1, v1
	v_mul_lo_u32 v2, s6, v1
	v_mul_hi_u32 v2, v1, v2
	v_add_nc_u32_e32 v1, v1, v2
	v_mul_hi_u32 v1, v3, v1
	v_mul_lo_u32 v2, v1, s0
	v_sub_nc_u32_e32 v2, v3, v2
	v_add_nc_u32_e32 v3, 1, v1
	v_subrev_nc_u32_e32 v4, s0, v2
	v_cmp_le_u32_e32 vcc_lo, s0, v2
	v_cndmask_b32_e32 v1, v1, v3, vcc_lo
	v_cndmask_b32_e32 v2, v2, v4, vcc_lo
	v_xor_b32_e32 v3, s18, v0
	v_add_nc_u32_e32 v4, 1, v1
	v_cmp_le_u32_e32 vcc_lo, s0, v2
	v_ashrrev_i32_e32 v3, 31, v3
	s_cselect_b32 s0, -1, 0
	s_cmp_lg_u32 s14, s18
	v_cndmask_b32_e32 v1, v1, v4, vcc_lo
	s_cselect_b32 s6, -1, 0
	s_or_b32 s0, s6, s0
	v_xor_b32_e32 v1, v1, v3
	s_and_b32 vcc_lo, exec_lo, s0
	s_mov_b32 s0, -1
	v_sub_nc_u32_e32 v14, v1, v3
	v_mul_lo_u32 v1, v14, s18
	v_sub_nc_u32_e32 v15, v0, v1
	s_cbranch_vccz .LBB10_35
; %bb.2:
	s_cmp_lt_i32 s8, 1
	s_cbranch_scc1 .LBB10_34
; %bb.3:
	v_cvt_f32_i32_e32 v0, v15
	v_cvt_f32_i32_e32 v1, v14
	s_bitcmp1_b32 s3, 0
	s_load_dwordx8 s[16:23], s[4:5], 0x80
	s_cselect_b32 vcc_lo, -1, 0
	v_add_f32_e32 v2, 0.5, v0
	v_add_f32_e32 v3, 0.5, v1
	v_mul_f32_e32 v0, s2, v0
	v_mul_f32_e32 v1, s1, v1
	s_mov_b32 s0, 0xbf400000
	v_fma_f32 v2, s2, v2, -0.5
	v_fma_f32 v3, s1, v3, -0.5
	s_mov_b32 s1, 0x3fa00000
	s_load_dwordx8 s[24:31], s[4:5], 0x38
	s_cmp_gt_i32 s10, 0
	v_cndmask_b32_e32 v0, v2, v0, vcc_lo
	v_cndmask_b32_e32 v2, v3, v1, vcc_lo
	s_cselect_b32 s6, -1, 0
	s_add_i32 s7, s14, -1
	s_load_dwordx2 s[2:3], s[4:5], 0x10
	v_floor_f32_e32 v1, v0
	v_floor_f32_e32 v3, v2
	s_add_i32 s9, s12, -1
	s_waitcnt lgkmcnt(0)
	v_mul_lo_u32 v4, s21, v14
	v_cvt_i32_f32_e32 v6, v1
	v_cvt_i32_f32_e32 v29, v3
	v_ashrrev_i32_e32 v1, 31, v14
	v_cvt_f32_i32_e32 v3, v6
	v_cvt_f32_i32_e32 v5, v29
	v_mul_lo_u32 v7, s20, v1
	v_sub_f32_e32 v3, v0, v3
	v_sub_f32_e32 v2, v2, v5
	v_add_nc_u32_e32 v5, -1, v6
	v_mad_u64_u32 v[0:1], null, s20, v14, 0
	v_add_f32_e32 v8, 1.0, v3
	v_fmaak_f32 v9, s1, v3, 0xc0100000
	v_sub_f32_e32 v10, 1.0, v3
	v_fmaak_f32 v12, s1, v2, 0xc0100000
	v_sub_f32_e32 v13, 1.0, v2
	v_fmaak_f32 v16, s0, v8, 0x40700000
	v_mul_f32_e32 v9, v3, v9
	v_fmaak_f32 v17, s1, v10, 0xc0100000
	v_mul_f32_e32 v12, v2, v12
	v_add_f32_e32 v23, 1.0, v13
	v_add_f32_e32 v11, 1.0, v2
	;; [unrolled: 1-line block ×3, first 2 shown]
	v_fmaak_f32 v20, v8, v16, 0xc0c00000
	v_fma_f32 v16, v3, v9, 1.0
	v_mul_f32_e32 v3, v10, v17
	v_fma_f32 v17, v2, v12, 1.0
	v_fmaak_f32 v2, s0, v23, 0x40700000
	v_fmaak_f32 v18, s0, v11, 0x40700000
	;; [unrolled: 1-line block ×4, first 2 shown]
	s_load_dwordx2 s[0:1], s[4:5], 0x58
	v_fmaak_f32 v2, v23, v2, 0xc0c00000
	v_fmaak_f32 v21, v11, v18, 0xc0c00000
	v_fmaak_f32 v18, v8, v20, 0x40400000
	v_fmaak_f32 v8, v22, v9, 0xc0c00000
	v_add_nc_u32_e32 v9, 1, v6
	v_mul_f32_e32 v12, v13, v19
	v_fma_f32 v19, v10, v3, 1.0
	v_add_nc_u32_e32 v10, 2, v6
	v_fmaak_f32 v23, v23, v2, 0x40400000
	v_min_i32_e32 v2, s7, v5
	v_ashrrev_i32_e32 v3, 31, v15
	v_min_i32_e32 v6, s7, v6
	v_min_i32_e32 v9, s7, v9
	;; [unrolled: 1-line block ×3, first 2 shown]
	v_fmaak_f32 v20, v11, v21, 0x40400000
	v_fma_f32 v21, v13, v12, 1.0
	v_fmaak_f32 v22, v22, v8, 0x40400000
	v_add3_u32 v1, v1, v7, v4
	v_mul_lo_u32 v7, s23, v15
	v_max_i32_e32 v12, 0, v2
	v_mul_lo_u32 v8, s22, v3
	v_mad_u64_u32 v[2:3], null, s22, v15, 0
	v_max_i32_e32 v24, 0, v6
	v_max_i32_e32 v25, 0, v9
	;; [unrolled: 1-line block ×3, first 2 shown]
	v_lshlrev_b64 v[0:1], 1, v[0:1]
	v_mad_u64_u32 v[4:5], null, s30, v12, 0
	v_add3_u32 v3, v3, v8, v7
	v_mad_u64_u32 v[6:7], null, s30, v24, 0
	v_mad_u64_u32 v[8:9], null, s30, v25, 0
	;; [unrolled: 1-line block ×3, first 2 shown]
	s_waitcnt lgkmcnt(0)
	v_add_co_u32 v30, vcc_lo, s0, v0
	v_add_co_ci_u32_e64 v31, null, s1, v1, vcc_lo
	v_lshlrev_b64 v[0:1], 1, v[2:3]
	v_mov_b32_e32 v2, v7
	v_mov_b32_e32 v3, v9
	v_mad_u64_u32 v[12:13], null, s31, v12, v[5:6]
	v_mov_b32_e32 v5, v11
	s_mov_b32 s7, 0
	v_mad_u64_u32 v[26:27], null, s31, v24, v[2:3]
	v_mad_u64_u32 v[2:3], null, s31, v25, v[3:4]
	;; [unrolled: 1-line block ×3, first 2 shown]
	v_mov_b32_e32 v5, v12
	v_add_co_u32 v24, vcc_lo, v30, v0
	v_mov_b32_e32 v7, v26
	v_mov_b32_e32 v9, v2
	v_add_co_ci_u32_e64 v25, null, v31, v1, vcc_lo
	v_mov_b32_e32 v11, v27
	v_lshlrev_b64 v[0:1], 1, v[4:5]
	v_lshlrev_b64 v[2:3], 1, v[6:7]
	;; [unrolled: 1-line block ×3, first 2 shown]
	v_add_nc_u32_e32 v26, -1, v29
	v_lshlrev_b64 v[6:7], 1, v[10:11]
	v_mov_b32_e32 v9, 0
	s_branch .LBB10_5
.LBB10_4:                               ;   in Loop: Header=BB10_5 Depth=1
	s_add_i32 s7, s7, 1
	s_cmp_eq_u32 s7, s8
	s_cbranch_scc1 .LBB10_34
.LBB10_5:                               ; =>This Loop Header: Depth=1
                                        ;     Child Loop BB10_8 Depth 2
                                        ;       Child Loop BB10_10 Depth 3
                                        ;         Child Loop BB10_12 Depth 4
                                        ;         Child Loop BB10_18 Depth 4
	;; [unrolled: 1-line block ×4, first 2 shown]
	s_andn2_b32 vcc_lo, exec_lo, s6
	s_cbranch_vccnz .LBB10_4
; %bb.6:                                ;   in Loop: Header=BB10_5 Depth=1
	s_mul_i32 s0, s17, s7
	s_mul_hi_u32 s1, s16, s7
	s_mul_i32 s11, s25, s7
	s_add_i32 s1, s1, s0
	s_mul_i32 s0, s16, s7
	s_mul_hi_u32 s12, s24, s7
	s_lshl_b64 s[0:1], s[0:1], 1
	s_add_i32 s13, s12, s11
	s_mul_i32 s12, s24, s7
	v_add_co_u32 v27, vcc_lo, v24, s0
	s_lshl_b64 s[12:13], s[12:13], 1
	v_add_co_ci_u32_e64 v28, null, s1, v25, vcc_lo
	s_add_u32 s11, s2, s12
	s_addc_u32 s12, s3, s13
	s_mov_b32 s13, 0
	s_branch .LBB10_8
.LBB10_7:                               ;   in Loop: Header=BB10_8 Depth=2
	s_add_i32 s13, s13, 1
	s_cmp_eq_u32 s13, s10
	s_cbranch_scc1 .LBB10_4
.LBB10_8:                               ;   Parent Loop BB10_5 Depth=1
                                        ; =>  This Loop Header: Depth=2
                                        ;       Child Loop BB10_10 Depth 3
                                        ;         Child Loop BB10_12 Depth 4
                                        ;         Child Loop BB10_18 Depth 4
	;; [unrolled: 1-line block ×4, first 2 shown]
	s_mul_i32 s1, s19, s13
	s_mul_hi_u32 s14, s18, s13
	s_mul_i32 s0, s18, s13
	s_add_i32 s1, s14, s1
	s_mov_b32 s20, 0
	s_lshl_b64 s[0:1], s[0:1], 1
	v_add_co_u32 v10, vcc_lo, v27, s0
	v_add_co_ci_u32_e64 v11, null, s1, v28, vcc_lo
	s_mul_i32 s0, s27, s13
	s_mul_hi_u32 s1, s26, s13
	global_load_ushort v8, v[10:11], off
	s_add_i32 s1, s1, s0
	s_mul_i32 s0, s26, s13
	s_lshl_b64 s[0:1], s[0:1], 1
	s_add_u32 s14, s11, s0
	s_addc_u32 s15, s12, s1
	s_waitcnt vmcnt(0)
	v_cvt_f32_f16_e32 v29, v8
	s_branch .LBB10_10
.LBB10_9:                               ;   in Loop: Header=BB10_10 Depth=3
	s_inst_prefetch 0x2
	s_or_b32 exec_lo, exec_lo, s21
	s_add_i32 s20, s20, 1
	s_cmp_eq_u32 s20, 4
	s_cbranch_scc1 .LBB10_7
.LBB10_10:                              ;   Parent Loop BB10_5 Depth=1
                                        ;     Parent Loop BB10_8 Depth=2
                                        ; =>    This Loop Header: Depth=3
                                        ;         Child Loop BB10_12 Depth 4
                                        ;         Child Loop BB10_18 Depth 4
	;; [unrolled: 1-line block ×4, first 2 shown]
	v_add_nc_u32_e32 v8, s20, v26
	s_cmp_eq_u32 s20, 1
	s_mov_b32 s21, 0
	v_min_i32_e32 v8, s9, v8
	v_max_i32_e32 v12, 0, v8
	v_mad_u64_u32 v[10:11], null, s28, v12, 0
	v_mov_b32_e32 v8, v11
	v_mad_u64_u32 v[11:12], null, s29, v12, v[8:9]
	v_lshlrev_b64 v[10:11], 1, v[10:11]
	v_add_co_u32 v30, vcc_lo, s14, v10
	v_add_co_ci_u32_e64 v31, null, s15, v11, vcc_lo
	v_add_co_u32 v10, vcc_lo, v30, v0
	v_add_co_ci_u32_e64 v11, null, v31, v1, vcc_lo
	v_and_b32_e32 v8, 2, v10
	v_sub_co_u32 v12, s0, 0, v8
	v_sub_co_ci_u32_e64 v13, null, 0, 0, s0
	v_cmp_ne_u32_e64 s0, 0, v8
	v_add_co_u32 v10, vcc_lo, v10, v12
	v_add_co_ci_u32_e64 v11, null, v11, v13, vcc_lo
	s_cselect_b32 vcc_lo, -1, 0
	s_cmp_eq_u32 s20, 2
	v_cndmask_b32_e32 v12, v20, v17, vcc_lo
	global_load_dword v13, v[10:11], off
	s_cselect_b32 vcc_lo, -1, 0
	s_cmp_eq_u32 s20, 3
	v_cndmask_b32_e32 v12, v12, v21, vcc_lo
	s_cselect_b32 vcc_lo, -1, 0
	v_cndmask_b32_e32 v12, v12, v23, vcc_lo
	v_cmp_eq_u64_e32 vcc_lo, 0, v[8:9]
	v_mul_f32_e32 v32, v12, v29
	v_fma_mixlo_f16 v33, v32, v18, 0
	s_inst_prefetch 0x1
	s_branch .LBB10_12
	.p2align	6
.LBB10_11:                              ;   in Loop: Header=BB10_12 Depth=4
	s_or_b32 exec_lo, exec_lo, s1
	global_atomic_cmpswap v8, v[10:11], v[12:13], off glc
	s_waitcnt vmcnt(0)
	v_cmp_eq_u32_e64 s1, v13, v8
	v_mov_b32_e32 v13, v8
	s_or_b32 s21, s1, s21
	s_andn2_b32 exec_lo, exec_lo, s21
	s_cbranch_execz .LBB10_16
.LBB10_12:                              ;   Parent Loop BB10_5 Depth=1
                                        ;     Parent Loop BB10_8 Depth=2
                                        ;       Parent Loop BB10_10 Depth=3
                                        ; =>      This Inner Loop Header: Depth=4
	s_waitcnt vmcnt(0)
	v_cndmask_b32_sdwa v8, v13, v13, vcc_lo dst_sel:DWORD dst_unused:UNUSED_PAD src0_sel:WORD_1 src1_sel:DWORD
	v_add_f16_e32 v8, v33, v8
	v_and_b32_e32 v8, 0xffff, v8
	s_and_saveexec_b32 s1, s0
	s_xor_b32 s1, exec_lo, s1
; %bb.13:                               ;   in Loop: Header=BB10_12 Depth=4
	v_and_b32_e32 v12, 0xffff, v13
	v_lshl_or_b32 v12, v8, 16, v12
                                        ; implicit-def: $vgpr8
; %bb.14:                               ;   in Loop: Header=BB10_12 Depth=4
	s_andn2_saveexec_b32 s1, s1
	s_cbranch_execz .LBB10_11
; %bb.15:                               ;   in Loop: Header=BB10_12 Depth=4
	v_and_or_b32 v12, 0xffff0000, v13, v8
	s_branch .LBB10_11
.LBB10_16:                              ;   in Loop: Header=BB10_10 Depth=3
	s_inst_prefetch 0x2
	s_or_b32 exec_lo, exec_lo, s21
	v_add_co_u32 v10, vcc_lo, v30, v2
	v_add_co_ci_u32_e64 v11, null, v31, v3, vcc_lo
	v_fma_mixlo_f16 v33, v32, v16, 0
	v_and_b32_e32 v8, 2, v10
	s_mov_b32 s21, 0
	v_sub_co_u32 v12, s0, 0, v8
	v_sub_co_ci_u32_e64 v13, null, 0, 0, s0
	v_cmp_ne_u32_e64 s0, 0, v8
	v_add_co_u32 v10, vcc_lo, v10, v12
	v_add_co_ci_u32_e64 v11, null, v11, v13, vcc_lo
	v_cmp_eq_u64_e32 vcc_lo, 0, v[8:9]
	global_load_dword v13, v[10:11], off
	s_inst_prefetch 0x1
	s_branch .LBB10_18
	.p2align	6
.LBB10_17:                              ;   in Loop: Header=BB10_18 Depth=4
	s_or_b32 exec_lo, exec_lo, s1
	global_atomic_cmpswap v8, v[10:11], v[12:13], off glc
	s_waitcnt vmcnt(0)
	v_cmp_eq_u32_e64 s1, v13, v8
	v_mov_b32_e32 v13, v8
	s_or_b32 s21, s1, s21
	s_andn2_b32 exec_lo, exec_lo, s21
	s_cbranch_execz .LBB10_22
.LBB10_18:                              ;   Parent Loop BB10_5 Depth=1
                                        ;     Parent Loop BB10_8 Depth=2
                                        ;       Parent Loop BB10_10 Depth=3
                                        ; =>      This Inner Loop Header: Depth=4
	s_waitcnt vmcnt(0)
	v_cndmask_b32_sdwa v8, v13, v13, vcc_lo dst_sel:DWORD dst_unused:UNUSED_PAD src0_sel:WORD_1 src1_sel:DWORD
	v_add_f16_e32 v8, v33, v8
	v_and_b32_e32 v8, 0xffff, v8
	s_and_saveexec_b32 s1, s0
	s_xor_b32 s1, exec_lo, s1
; %bb.19:                               ;   in Loop: Header=BB10_18 Depth=4
	v_and_b32_e32 v12, 0xffff, v13
	v_lshl_or_b32 v12, v8, 16, v12
                                        ; implicit-def: $vgpr8
; %bb.20:                               ;   in Loop: Header=BB10_18 Depth=4
	s_andn2_saveexec_b32 s1, s1
	s_cbranch_execz .LBB10_17
; %bb.21:                               ;   in Loop: Header=BB10_18 Depth=4
	v_and_or_b32 v12, 0xffff0000, v13, v8
	s_branch .LBB10_17
.LBB10_22:                              ;   in Loop: Header=BB10_10 Depth=3
	s_inst_prefetch 0x2
	s_or_b32 exec_lo, exec_lo, s21
	v_add_co_u32 v10, vcc_lo, v30, v4
	v_add_co_ci_u32_e64 v11, null, v31, v5, vcc_lo
	v_fma_mixlo_f16 v33, v32, v19, 0
	v_and_b32_e32 v8, 2, v10
	s_mov_b32 s21, 0
	v_sub_co_u32 v12, s0, 0, v8
	v_sub_co_ci_u32_e64 v13, null, 0, 0, s0
	v_cmp_ne_u32_e64 s0, 0, v8
	v_add_co_u32 v10, vcc_lo, v10, v12
	v_add_co_ci_u32_e64 v11, null, v11, v13, vcc_lo
	v_cmp_eq_u64_e32 vcc_lo, 0, v[8:9]
	global_load_dword v13, v[10:11], off
	s_inst_prefetch 0x1
	s_branch .LBB10_24
	.p2align	6
.LBB10_23:                              ;   in Loop: Header=BB10_24 Depth=4
	s_or_b32 exec_lo, exec_lo, s1
	global_atomic_cmpswap v8, v[10:11], v[12:13], off glc
	s_waitcnt vmcnt(0)
	v_cmp_eq_u32_e64 s1, v13, v8
	v_mov_b32_e32 v13, v8
	s_or_b32 s21, s1, s21
	s_andn2_b32 exec_lo, exec_lo, s21
	s_cbranch_execz .LBB10_28
.LBB10_24:                              ;   Parent Loop BB10_5 Depth=1
                                        ;     Parent Loop BB10_8 Depth=2
                                        ;       Parent Loop BB10_10 Depth=3
                                        ; =>      This Inner Loop Header: Depth=4
	s_waitcnt vmcnt(0)
	v_cndmask_b32_sdwa v8, v13, v13, vcc_lo dst_sel:DWORD dst_unused:UNUSED_PAD src0_sel:WORD_1 src1_sel:DWORD
	v_add_f16_e32 v8, v33, v8
	v_and_b32_e32 v8, 0xffff, v8
	s_and_saveexec_b32 s1, s0
	s_xor_b32 s1, exec_lo, s1
; %bb.25:                               ;   in Loop: Header=BB10_24 Depth=4
	v_and_b32_e32 v12, 0xffff, v13
	v_lshl_or_b32 v12, v8, 16, v12
                                        ; implicit-def: $vgpr8
; %bb.26:                               ;   in Loop: Header=BB10_24 Depth=4
	s_andn2_saveexec_b32 s1, s1
	s_cbranch_execz .LBB10_23
; %bb.27:                               ;   in Loop: Header=BB10_24 Depth=4
	v_and_or_b32 v12, 0xffff0000, v13, v8
	s_branch .LBB10_23
.LBB10_28:                              ;   in Loop: Header=BB10_10 Depth=3
	s_inst_prefetch 0x2
	s_or_b32 exec_lo, exec_lo, s21
	v_add_co_u32 v10, vcc_lo, v30, v6
	v_add_co_ci_u32_e64 v11, null, v31, v7, vcc_lo
	v_fma_mixlo_f16 v30, v32, v22, 0
	v_and_b32_e32 v8, 2, v10
	s_mov_b32 s21, 0
	v_sub_co_u32 v12, s0, 0, v8
	v_sub_co_ci_u32_e64 v13, null, 0, 0, s0
	v_cmp_ne_u32_e64 s0, 0, v8
	v_add_co_u32 v10, vcc_lo, v10, v12
	v_add_co_ci_u32_e64 v11, null, v11, v13, vcc_lo
	v_cmp_eq_u64_e32 vcc_lo, 0, v[8:9]
	global_load_dword v13, v[10:11], off
	s_inst_prefetch 0x1
	s_branch .LBB10_30
	.p2align	6
.LBB10_29:                              ;   in Loop: Header=BB10_30 Depth=4
	s_or_b32 exec_lo, exec_lo, s1
	global_atomic_cmpswap v8, v[10:11], v[12:13], off glc
	s_waitcnt vmcnt(0)
	v_cmp_eq_u32_e64 s1, v13, v8
	v_mov_b32_e32 v13, v8
	s_or_b32 s21, s1, s21
	s_andn2_b32 exec_lo, exec_lo, s21
	s_cbranch_execz .LBB10_9
.LBB10_30:                              ;   Parent Loop BB10_5 Depth=1
                                        ;     Parent Loop BB10_8 Depth=2
                                        ;       Parent Loop BB10_10 Depth=3
                                        ; =>      This Inner Loop Header: Depth=4
	s_waitcnt vmcnt(0)
	v_cndmask_b32_sdwa v8, v13, v13, vcc_lo dst_sel:DWORD dst_unused:UNUSED_PAD src0_sel:WORD_1 src1_sel:DWORD
	v_add_f16_e32 v8, v30, v8
	v_and_b32_e32 v8, 0xffff, v8
	s_and_saveexec_b32 s1, s0
	s_xor_b32 s1, exec_lo, s1
; %bb.31:                               ;   in Loop: Header=BB10_30 Depth=4
	v_and_b32_e32 v12, 0xffff, v13
	v_lshl_or_b32 v12, v8, 16, v12
                                        ; implicit-def: $vgpr8
; %bb.32:                               ;   in Loop: Header=BB10_30 Depth=4
	s_andn2_saveexec_b32 s1, s1
	s_cbranch_execz .LBB10_29
; %bb.33:                               ;   in Loop: Header=BB10_30 Depth=4
	v_and_or_b32 v12, 0xffff0000, v13, v8
	s_branch .LBB10_29
.LBB10_34:
	s_mov_b32 s0, 0
.LBB10_35:
	s_andn2_b32 vcc_lo, exec_lo, s0
	s_cbranch_vccnz .LBB10_41
; %bb.36:
	s_cmp_lt_i32 s8, 1
	s_cbranch_scc1 .LBB10_41
; %bb.37:
	s_clause 0x1
	s_load_dwordx8 s[12:19], s[4:5], 0x80
	s_load_dwordx8 s[20:27], s[4:5], 0x38
	v_ashrrev_i32_e32 v4, 31, v14
	s_clause 0x1
	s_load_dwordx2 s[0:1], s[4:5], 0x10
	s_load_dwordx2 s[2:3], s[4:5], 0x58
	v_ashrrev_i32_e32 v6, 31, v15
	s_cmp_gt_i32 s10, 0
	s_mov_b32 s9, 0
	s_cselect_b32 s11, -1, 0
	s_waitcnt lgkmcnt(0)
	v_mul_lo_u32 v8, s17, v14
	v_mul_lo_u32 v9, s16, v4
	v_mad_u64_u32 v[0:1], null, s16, v14, 0
	v_mul_lo_u32 v12, s25, v14
	v_mul_lo_u32 v13, s24, v4
	v_mad_u64_u32 v[4:5], null, s24, v14, 0
	;; [unrolled: 3-line block ×4, first 2 shown]
	v_add3_u32 v1, v1, v9, v8
	v_add3_u32 v5, v5, v13, v12
	;; [unrolled: 1-line block ×3, first 2 shown]
	s_lshl_b64 s[4:5], s[12:13], 1
	s_lshl_b64 s[6:7], s[14:15], 1
	v_lshlrev_b64 v[0:1], 1, v[0:1]
	v_add3_u32 v7, v7, v16, v14
	v_lshlrev_b64 v[4:5], 1, v[4:5]
	v_lshlrev_b64 v[2:3], 1, v[2:3]
	v_add_co_u32 v0, vcc_lo, s2, v0
	v_lshlrev_b64 v[6:7], 1, v[6:7]
	v_add_co_ci_u32_e64 v1, null, s3, v1, vcc_lo
	v_add_co_u32 v4, vcc_lo, s0, v4
	v_add_co_ci_u32_e64 v5, null, s1, v5, vcc_lo
	v_add_co_u32 v0, vcc_lo, v0, v2
	;; [unrolled: 2-line block ×3, first 2 shown]
	v_add_co_ci_u32_e64 v3, null, v5, v7, vcc_lo
	s_lshl_b64 s[0:1], s[20:21], 1
	s_lshl_b64 s[2:3], s[22:23], 1
	s_inst_prefetch 0x1
	s_branch .LBB10_39
	.p2align	6
.LBB10_38:                              ;   in Loop: Header=BB10_39 Depth=1
	v_add_co_u32 v2, vcc_lo, v2, s0
	v_add_co_ci_u32_e64 v3, null, s1, v3, vcc_lo
	v_add_co_u32 v0, vcc_lo, v0, s4
	v_add_co_ci_u32_e64 v1, null, s5, v1, vcc_lo
	s_add_i32 s9, s9, 1
	s_cmp_eq_u32 s9, s8
	s_cbranch_scc1 .LBB10_41
.LBB10_39:                              ; =>This Loop Header: Depth=1
                                        ;     Child Loop BB10_40 Depth 2
	v_mov_b32_e32 v5, v1
	v_mov_b32_e32 v7, v3
	;; [unrolled: 1-line block ×4, first 2 shown]
	s_andn2_b32 vcc_lo, exec_lo, s11
	s_mov_b32 s12, s10
	s_cbranch_vccnz .LBB10_38
.LBB10_40:                              ;   Parent Loop BB10_39 Depth=1
                                        ; =>  This Inner Loop Header: Depth=2
	global_load_ushort v8, v[4:5], off
	v_add_co_u32 v4, vcc_lo, v4, s6
	v_add_co_ci_u32_e64 v5, null, s7, v5, vcc_lo
	s_add_i32 s12, s12, -1
	s_cmp_eq_u32 s12, 0
	s_waitcnt vmcnt(0)
	global_store_short v[6:7], v8, off
	v_add_co_u32 v6, vcc_lo, v6, s2
	v_add_co_ci_u32_e64 v7, null, s3, v7, vcc_lo
	s_cbranch_scc0 .LBB10_40
	s_branch .LBB10_38
.LBB10_41:
	s_inst_prefetch 0x2
	s_endpgm
	.section	.rodata,"a",@progbits
	.p2align	6, 0x0
	.amdhsa_kernel _ZN2at6native12_GLOBAL__N_137upsample_bicubic2d_backward_out_frameIN3c104HalfEfEEviT0_S5_bN5torch10headeronly6detail27GenericPackedTensorAccessorINS8_14TensorAccessorINS3_8ArrayRefIlEET_Lm3ENS7_16DefaultPtrTraitsElEENS_6detail16IndexBoundsCheckILm4ElEESD_Lm4ESE_lEENS9_INSA_ISC_KSD_Lm3ESE_lEESI_SK_Lm4ESE_lEE
		.amdhsa_group_segment_fixed_size 0
		.amdhsa_private_segment_fixed_size 0
		.amdhsa_kernarg_size 416
		.amdhsa_user_sgpr_count 6
		.amdhsa_user_sgpr_private_segment_buffer 1
		.amdhsa_user_sgpr_dispatch_ptr 0
		.amdhsa_user_sgpr_queue_ptr 0
		.amdhsa_user_sgpr_kernarg_segment_ptr 1
		.amdhsa_user_sgpr_dispatch_id 0
		.amdhsa_user_sgpr_flat_scratch_init 0
		.amdhsa_user_sgpr_private_segment_size 0
		.amdhsa_wavefront_size32 1
		.amdhsa_uses_dynamic_stack 0
		.amdhsa_system_sgpr_private_segment_wavefront_offset 0
		.amdhsa_system_sgpr_workgroup_id_x 1
		.amdhsa_system_sgpr_workgroup_id_y 0
		.amdhsa_system_sgpr_workgroup_id_z 0
		.amdhsa_system_sgpr_workgroup_info 0
		.amdhsa_system_vgpr_workitem_id 0
		.amdhsa_next_free_vgpr 34
		.amdhsa_next_free_sgpr 32
		.amdhsa_reserve_vcc 1
		.amdhsa_reserve_flat_scratch 0
		.amdhsa_float_round_mode_32 0
		.amdhsa_float_round_mode_16_64 0
		.amdhsa_float_denorm_mode_32 3
		.amdhsa_float_denorm_mode_16_64 3
		.amdhsa_dx10_clamp 1
		.amdhsa_ieee_mode 1
		.amdhsa_fp16_overflow 0
		.amdhsa_workgroup_processor_mode 1
		.amdhsa_memory_ordered 1
		.amdhsa_forward_progress 1
		.amdhsa_shared_vgpr_count 0
		.amdhsa_exception_fp_ieee_invalid_op 0
		.amdhsa_exception_fp_denorm_src 0
		.amdhsa_exception_fp_ieee_div_zero 0
		.amdhsa_exception_fp_ieee_overflow 0
		.amdhsa_exception_fp_ieee_underflow 0
		.amdhsa_exception_fp_ieee_inexact 0
		.amdhsa_exception_int_div_zero 0
	.end_amdhsa_kernel
	.section	.text._ZN2at6native12_GLOBAL__N_137upsample_bicubic2d_backward_out_frameIN3c104HalfEfEEviT0_S5_bN5torch10headeronly6detail27GenericPackedTensorAccessorINS8_14TensorAccessorINS3_8ArrayRefIlEET_Lm3ENS7_16DefaultPtrTraitsElEENS_6detail16IndexBoundsCheckILm4ElEESD_Lm4ESE_lEENS9_INSA_ISC_KSD_Lm3ESE_lEESI_SK_Lm4ESE_lEE,"axG",@progbits,_ZN2at6native12_GLOBAL__N_137upsample_bicubic2d_backward_out_frameIN3c104HalfEfEEviT0_S5_bN5torch10headeronly6detail27GenericPackedTensorAccessorINS8_14TensorAccessorINS3_8ArrayRefIlEET_Lm3ENS7_16DefaultPtrTraitsElEENS_6detail16IndexBoundsCheckILm4ElEESD_Lm4ESE_lEENS9_INSA_ISC_KSD_Lm3ESE_lEESI_SK_Lm4ESE_lEE,comdat
.Lfunc_end10:
	.size	_ZN2at6native12_GLOBAL__N_137upsample_bicubic2d_backward_out_frameIN3c104HalfEfEEviT0_S5_bN5torch10headeronly6detail27GenericPackedTensorAccessorINS8_14TensorAccessorINS3_8ArrayRefIlEET_Lm3ENS7_16DefaultPtrTraitsElEENS_6detail16IndexBoundsCheckILm4ElEESD_Lm4ESE_lEENS9_INSA_ISC_KSD_Lm3ESE_lEESI_SK_Lm4ESE_lEE, .Lfunc_end10-_ZN2at6native12_GLOBAL__N_137upsample_bicubic2d_backward_out_frameIN3c104HalfEfEEviT0_S5_bN5torch10headeronly6detail27GenericPackedTensorAccessorINS8_14TensorAccessorINS3_8ArrayRefIlEET_Lm3ENS7_16DefaultPtrTraitsElEENS_6detail16IndexBoundsCheckILm4ElEESD_Lm4ESE_lEENS9_INSA_ISC_KSD_Lm3ESE_lEESI_SK_Lm4ESE_lEE
                                        ; -- End function
	.set _ZN2at6native12_GLOBAL__N_137upsample_bicubic2d_backward_out_frameIN3c104HalfEfEEviT0_S5_bN5torch10headeronly6detail27GenericPackedTensorAccessorINS8_14TensorAccessorINS3_8ArrayRefIlEET_Lm3ENS7_16DefaultPtrTraitsElEENS_6detail16IndexBoundsCheckILm4ElEESD_Lm4ESE_lEENS9_INSA_ISC_KSD_Lm3ESE_lEESI_SK_Lm4ESE_lEE.num_vgpr, 34
	.set _ZN2at6native12_GLOBAL__N_137upsample_bicubic2d_backward_out_frameIN3c104HalfEfEEviT0_S5_bN5torch10headeronly6detail27GenericPackedTensorAccessorINS8_14TensorAccessorINS3_8ArrayRefIlEET_Lm3ENS7_16DefaultPtrTraitsElEENS_6detail16IndexBoundsCheckILm4ElEESD_Lm4ESE_lEENS9_INSA_ISC_KSD_Lm3ESE_lEESI_SK_Lm4ESE_lEE.num_agpr, 0
	.set _ZN2at6native12_GLOBAL__N_137upsample_bicubic2d_backward_out_frameIN3c104HalfEfEEviT0_S5_bN5torch10headeronly6detail27GenericPackedTensorAccessorINS8_14TensorAccessorINS3_8ArrayRefIlEET_Lm3ENS7_16DefaultPtrTraitsElEENS_6detail16IndexBoundsCheckILm4ElEESD_Lm4ESE_lEENS9_INSA_ISC_KSD_Lm3ESE_lEESI_SK_Lm4ESE_lEE.numbered_sgpr, 32
	.set _ZN2at6native12_GLOBAL__N_137upsample_bicubic2d_backward_out_frameIN3c104HalfEfEEviT0_S5_bN5torch10headeronly6detail27GenericPackedTensorAccessorINS8_14TensorAccessorINS3_8ArrayRefIlEET_Lm3ENS7_16DefaultPtrTraitsElEENS_6detail16IndexBoundsCheckILm4ElEESD_Lm4ESE_lEENS9_INSA_ISC_KSD_Lm3ESE_lEESI_SK_Lm4ESE_lEE.num_named_barrier, 0
	.set _ZN2at6native12_GLOBAL__N_137upsample_bicubic2d_backward_out_frameIN3c104HalfEfEEviT0_S5_bN5torch10headeronly6detail27GenericPackedTensorAccessorINS8_14TensorAccessorINS3_8ArrayRefIlEET_Lm3ENS7_16DefaultPtrTraitsElEENS_6detail16IndexBoundsCheckILm4ElEESD_Lm4ESE_lEENS9_INSA_ISC_KSD_Lm3ESE_lEESI_SK_Lm4ESE_lEE.private_seg_size, 0
	.set _ZN2at6native12_GLOBAL__N_137upsample_bicubic2d_backward_out_frameIN3c104HalfEfEEviT0_S5_bN5torch10headeronly6detail27GenericPackedTensorAccessorINS8_14TensorAccessorINS3_8ArrayRefIlEET_Lm3ENS7_16DefaultPtrTraitsElEENS_6detail16IndexBoundsCheckILm4ElEESD_Lm4ESE_lEENS9_INSA_ISC_KSD_Lm3ESE_lEESI_SK_Lm4ESE_lEE.uses_vcc, 1
	.set _ZN2at6native12_GLOBAL__N_137upsample_bicubic2d_backward_out_frameIN3c104HalfEfEEviT0_S5_bN5torch10headeronly6detail27GenericPackedTensorAccessorINS8_14TensorAccessorINS3_8ArrayRefIlEET_Lm3ENS7_16DefaultPtrTraitsElEENS_6detail16IndexBoundsCheckILm4ElEESD_Lm4ESE_lEENS9_INSA_ISC_KSD_Lm3ESE_lEESI_SK_Lm4ESE_lEE.uses_flat_scratch, 0
	.set _ZN2at6native12_GLOBAL__N_137upsample_bicubic2d_backward_out_frameIN3c104HalfEfEEviT0_S5_bN5torch10headeronly6detail27GenericPackedTensorAccessorINS8_14TensorAccessorINS3_8ArrayRefIlEET_Lm3ENS7_16DefaultPtrTraitsElEENS_6detail16IndexBoundsCheckILm4ElEESD_Lm4ESE_lEENS9_INSA_ISC_KSD_Lm3ESE_lEESI_SK_Lm4ESE_lEE.has_dyn_sized_stack, 0
	.set _ZN2at6native12_GLOBAL__N_137upsample_bicubic2d_backward_out_frameIN3c104HalfEfEEviT0_S5_bN5torch10headeronly6detail27GenericPackedTensorAccessorINS8_14TensorAccessorINS3_8ArrayRefIlEET_Lm3ENS7_16DefaultPtrTraitsElEENS_6detail16IndexBoundsCheckILm4ElEESD_Lm4ESE_lEENS9_INSA_ISC_KSD_Lm3ESE_lEESI_SK_Lm4ESE_lEE.has_recursion, 0
	.set _ZN2at6native12_GLOBAL__N_137upsample_bicubic2d_backward_out_frameIN3c104HalfEfEEviT0_S5_bN5torch10headeronly6detail27GenericPackedTensorAccessorINS8_14TensorAccessorINS3_8ArrayRefIlEET_Lm3ENS7_16DefaultPtrTraitsElEENS_6detail16IndexBoundsCheckILm4ElEESD_Lm4ESE_lEENS9_INSA_ISC_KSD_Lm3ESE_lEESI_SK_Lm4ESE_lEE.has_indirect_call, 0
	.section	.AMDGPU.csdata,"",@progbits
; Kernel info:
; codeLenInByte = 2708
; TotalNumSgprs: 34
; NumVgprs: 34
; ScratchSize: 0
; MemoryBound: 0
; FloatMode: 240
; IeeeMode: 1
; LDSByteSize: 0 bytes/workgroup (compile time only)
; SGPRBlocks: 0
; VGPRBlocks: 4
; NumSGPRsForWavesPerEU: 34
; NumVGPRsForWavesPerEU: 34
; Occupancy: 16
; WaveLimiterHint : 1
; COMPUTE_PGM_RSRC2:SCRATCH_EN: 0
; COMPUTE_PGM_RSRC2:USER_SGPR: 6
; COMPUTE_PGM_RSRC2:TRAP_HANDLER: 0
; COMPUTE_PGM_RSRC2:TGID_X_EN: 1
; COMPUTE_PGM_RSRC2:TGID_Y_EN: 0
; COMPUTE_PGM_RSRC2:TGID_Z_EN: 0
; COMPUTE_PGM_RSRC2:TIDIG_COMP_CNT: 0
	.section	.text._ZN2at6native12_GLOBAL__N_137upsample_bicubic2d_backward_out_frameIN3c108BFloat16EfEEviT0_S5_bN5torch10headeronly6detail27GenericPackedTensorAccessorINS8_14TensorAccessorINS3_8ArrayRefIlEET_Lm3ENS7_16DefaultPtrTraitsElEENS_6detail16IndexBoundsCheckILm4ElEESD_Lm4ESE_lEENS9_INSA_ISC_KSD_Lm3ESE_lEESI_SK_Lm4ESE_lEE,"axG",@progbits,_ZN2at6native12_GLOBAL__N_137upsample_bicubic2d_backward_out_frameIN3c108BFloat16EfEEviT0_S5_bN5torch10headeronly6detail27GenericPackedTensorAccessorINS8_14TensorAccessorINS3_8ArrayRefIlEET_Lm3ENS7_16DefaultPtrTraitsElEENS_6detail16IndexBoundsCheckILm4ElEESD_Lm4ESE_lEENS9_INSA_ISC_KSD_Lm3ESE_lEESI_SK_Lm4ESE_lEE,comdat
	.globl	_ZN2at6native12_GLOBAL__N_137upsample_bicubic2d_backward_out_frameIN3c108BFloat16EfEEviT0_S5_bN5torch10headeronly6detail27GenericPackedTensorAccessorINS8_14TensorAccessorINS3_8ArrayRefIlEET_Lm3ENS7_16DefaultPtrTraitsElEENS_6detail16IndexBoundsCheckILm4ElEESD_Lm4ESE_lEENS9_INSA_ISC_KSD_Lm3ESE_lEESI_SK_Lm4ESE_lEE ; -- Begin function _ZN2at6native12_GLOBAL__N_137upsample_bicubic2d_backward_out_frameIN3c108BFloat16EfEEviT0_S5_bN5torch10headeronly6detail27GenericPackedTensorAccessorINS8_14TensorAccessorINS3_8ArrayRefIlEET_Lm3ENS7_16DefaultPtrTraitsElEENS_6detail16IndexBoundsCheckILm4ElEESD_Lm4ESE_lEENS9_INSA_ISC_KSD_Lm3ESE_lEESI_SK_Lm4ESE_lEE
	.p2align	8
	.type	_ZN2at6native12_GLOBAL__N_137upsample_bicubic2d_backward_out_frameIN3c108BFloat16EfEEviT0_S5_bN5torch10headeronly6detail27GenericPackedTensorAccessorINS8_14TensorAccessorINS3_8ArrayRefIlEET_Lm3ENS7_16DefaultPtrTraitsElEENS_6detail16IndexBoundsCheckILm4ElEESD_Lm4ESE_lEENS9_INSA_ISC_KSD_Lm3ESE_lEESI_SK_Lm4ESE_lEE,@function
_ZN2at6native12_GLOBAL__N_137upsample_bicubic2d_backward_out_frameIN3c108BFloat16EfEEviT0_S5_bN5torch10headeronly6detail27GenericPackedTensorAccessorINS8_14TensorAccessorINS3_8ArrayRefIlEET_Lm3ENS7_16DefaultPtrTraitsElEENS_6detail16IndexBoundsCheckILm4ElEESD_Lm4ESE_lEENS9_INSA_ISC_KSD_Lm3ESE_lEESI_SK_Lm4ESE_lEE: ; @_ZN2at6native12_GLOBAL__N_137upsample_bicubic2d_backward_out_frameIN3c108BFloat16EfEEviT0_S5_bN5torch10headeronly6detail27GenericPackedTensorAccessorINS8_14TensorAccessorINS3_8ArrayRefIlEET_Lm3ENS7_16DefaultPtrTraitsElEENS_6detail16IndexBoundsCheckILm4ElEESD_Lm4ESE_lEENS9_INSA_ISC_KSD_Lm3ESE_lEESI_SK_Lm4ESE_lEE
; %bb.0:
	s_clause 0x1
	s_load_dword s7, s[4:5], 0xac
	s_load_dwordx4 s[0:3], s[4:5], 0x0
	s_waitcnt lgkmcnt(0)
	s_and_b32 s7, s7, 0xffff
	v_mad_u64_u32 v[0:1], null, s6, s7, v[0:1]
	v_cmp_gt_i32_e32 vcc_lo, s0, v0
	s_and_saveexec_b32 s0, vcc_lo
	s_cbranch_execz .LBB11_25
; %bb.1:
	s_load_dwordx4 s[16:19], s[4:5], 0x70
	v_sub_nc_u32_e32 v3, 0, v0
	s_load_dwordx8 s[8:15], s[4:5], 0x18
	v_max_i32_e32 v3, v0, v3
	s_waitcnt lgkmcnt(0)
	s_abs_i32 s0, s18
	v_cvt_f32_u32_e32 v1, s0
	s_sub_i32 s6, 0, s0
	s_cmp_lg_u32 s12, s16
	v_rcp_iflag_f32_e32 v1, v1
	v_mul_f32_e32 v1, 0x4f7ffffe, v1
	v_cvt_u32_f32_e32 v1, v1
	v_mul_lo_u32 v2, s6, v1
	v_mul_hi_u32 v2, v1, v2
	v_add_nc_u32_e32 v1, v1, v2
	v_mul_hi_u32 v1, v3, v1
	v_mul_lo_u32 v2, v1, s0
	v_sub_nc_u32_e32 v2, v3, v2
	v_add_nc_u32_e32 v3, 1, v1
	v_subrev_nc_u32_e32 v4, s0, v2
	v_cmp_le_u32_e32 vcc_lo, s0, v2
	v_cndmask_b32_e32 v1, v1, v3, vcc_lo
	v_cndmask_b32_e32 v2, v2, v4, vcc_lo
	v_xor_b32_e32 v3, s18, v0
	v_add_nc_u32_e32 v4, 1, v1
	v_cmp_le_u32_e32 vcc_lo, s0, v2
	v_ashrrev_i32_e32 v3, 31, v3
	s_cselect_b32 s0, -1, 0
	s_cmp_lg_u32 s14, s18
	v_cndmask_b32_e32 v1, v1, v4, vcc_lo
	s_cselect_b32 s6, -1, 0
	s_or_b32 s0, s6, s0
	v_xor_b32_e32 v1, v1, v3
	s_and_b32 vcc_lo, exec_lo, s0
	s_mov_b32 s0, -1
	v_sub_nc_u32_e32 v14, v1, v3
	v_mul_lo_u32 v1, v14, s18
	v_sub_nc_u32_e32 v15, v0, v1
	s_cbranch_vccz .LBB11_19
; %bb.2:
	s_cmp_lt_i32 s8, 1
	s_cbranch_scc1 .LBB11_18
; %bb.3:
	v_cvt_f32_i32_e32 v0, v15
	v_cvt_f32_i32_e32 v1, v14
	s_bitcmp1_b32 s3, 0
	s_load_dwordx8 s[16:23], s[4:5], 0x80
	s_cselect_b32 vcc_lo, -1, 0
	v_add_f32_e32 v2, 0.5, v0
	v_add_f32_e32 v3, 0.5, v1
	v_mul_f32_e32 v0, s2, v0
	v_mul_f32_e32 v1, s1, v1
	s_mov_b32 s0, 0xbf400000
	v_fma_f32 v2, s2, v2, -0.5
	v_fma_f32 v3, s1, v3, -0.5
	s_mov_b32 s2, 0x3fa00000
	s_load_dwordx8 s[24:31], s[4:5], 0x38
	s_cmp_gt_i32 s10, 0
	v_cndmask_b32_e32 v0, v2, v0, vcc_lo
	v_cndmask_b32_e32 v2, v3, v1, vcc_lo
	s_cselect_b32 s1, -1, 0
	s_load_dwordx2 s[6:7], s[4:5], 0x58
	v_floor_f32_e32 v1, v0
	v_floor_f32_e32 v3, v2
	s_waitcnt lgkmcnt(0)
	v_mul_lo_u32 v4, s21, v14
	v_cvt_i32_f32_e32 v6, v1
	v_cvt_i32_f32_e32 v26, v3
	v_ashrrev_i32_e32 v1, 31, v14
	v_cvt_f32_i32_e32 v3, v6
	v_cvt_f32_i32_e32 v5, v26
	v_mul_lo_u32 v7, s20, v1
	v_add_nc_u32_e32 v26, -1, v26
	v_sub_f32_e32 v3, v0, v3
	v_sub_f32_e32 v2, v2, v5
	v_add_nc_u32_e32 v5, -1, v6
	v_mad_u64_u32 v[0:1], null, s20, v14, 0
	v_add_f32_e32 v8, 1.0, v3
	v_fmaak_f32 v9, s2, v3, 0xc0100000
	v_sub_f32_e32 v10, 1.0, v3
	v_fmaak_f32 v12, s2, v2, 0xc0100000
	v_sub_f32_e32 v13, 1.0, v2
	v_fmaak_f32 v16, s0, v8, 0x40700000
	v_mul_f32_e32 v9, v3, v9
	v_fmaak_f32 v17, s2, v10, 0xc0100000
	v_mul_f32_e32 v12, v2, v12
	v_add_f32_e32 v23, 1.0, v13
	v_add_f32_e32 v11, 1.0, v2
	;; [unrolled: 1-line block ×3, first 2 shown]
	v_fmaak_f32 v20, v8, v16, 0xc0c00000
	v_fma_f32 v16, v3, v9, 1.0
	v_mul_f32_e32 v3, v10, v17
	v_fma_f32 v17, v2, v12, 1.0
	v_fmaak_f32 v2, s0, v23, 0x40700000
	v_fmaak_f32 v18, s0, v11, 0x40700000
	;; [unrolled: 1-line block ×4, first 2 shown]
	s_add_i32 s0, s14, -1
	v_fmaak_f32 v2, v23, v2, 0xc0c00000
	v_fmaak_f32 v21, v11, v18, 0xc0c00000
	;; [unrolled: 1-line block ×4, first 2 shown]
	v_add_nc_u32_e32 v9, 1, v6
	v_mul_f32_e32 v12, v13, v19
	v_fma_f32 v19, v10, v3, 1.0
	v_add_nc_u32_e32 v10, 2, v6
	v_fmaak_f32 v23, v23, v2, 0x40400000
	v_min_i32_e32 v2, s0, v5
	v_ashrrev_i32_e32 v3, 31, v15
	v_min_i32_e32 v6, s0, v6
	v_min_i32_e32 v9, s0, v9
	;; [unrolled: 1-line block ×3, first 2 shown]
	v_fmaak_f32 v20, v11, v21, 0x40400000
	v_fma_f32 v21, v13, v12, 1.0
	v_fmaak_f32 v22, v22, v8, 0x40400000
	v_add3_u32 v1, v1, v7, v4
	v_mul_lo_u32 v7, s23, v15
	v_max_i32_e32 v12, 0, v2
	v_mul_lo_u32 v8, s22, v3
	v_mad_u64_u32 v[2:3], null, s22, v15, 0
	v_max_i32_e32 v24, 0, v6
	v_max_i32_e32 v25, 0, v9
	;; [unrolled: 1-line block ×3, first 2 shown]
	v_lshlrev_b64 v[0:1], 1, v[0:1]
	v_mad_u64_u32 v[4:5], null, s30, v12, 0
	v_add3_u32 v3, v3, v8, v7
	v_mad_u64_u32 v[6:7], null, s30, v24, 0
	v_mad_u64_u32 v[8:9], null, s30, v25, 0
	;; [unrolled: 1-line block ×3, first 2 shown]
	v_add_co_u32 v30, vcc_lo, s6, v0
	v_add_co_ci_u32_e64 v31, null, s7, v1, vcc_lo
	v_lshlrev_b64 v[0:1], 1, v[2:3]
	v_mov_b32_e32 v2, v7
	v_mov_b32_e32 v3, v9
	v_mad_u64_u32 v[12:13], null, s31, v12, v[5:6]
	v_mov_b32_e32 v5, v11
	s_load_dwordx2 s[2:3], s[4:5], 0x10
	v_mad_u64_u32 v[27:28], null, s31, v24, v[2:3]
	v_mad_u64_u32 v[2:3], null, s31, v25, v[3:4]
	;; [unrolled: 1-line block ×3, first 2 shown]
	v_mov_b32_e32 v5, v12
	v_add_co_u32 v24, vcc_lo, v30, v0
	v_mov_b32_e32 v7, v27
	v_mov_b32_e32 v9, v2
	v_add_co_ci_u32_e64 v25, null, v31, v1, vcc_lo
	v_mov_b32_e32 v11, v28
	v_lshlrev_b64 v[0:1], 1, v[4:5]
	v_lshlrev_b64 v[4:5], 1, v[6:7]
	;; [unrolled: 1-line block ×3, first 2 shown]
	v_mov_b32_e32 v3, 0
	v_lshlrev_b64 v[8:9], 1, v[10:11]
	v_mov_b32_e32 v27, 0x7fc0
	s_mov_b32 s6, 0
	s_add_i32 s7, s12, -1
	s_branch .LBB11_5
.LBB11_4:                               ;   in Loop: Header=BB11_5 Depth=1
	s_add_i32 s6, s6, 1
	s_cmp_eq_u32 s6, s8
	s_cbranch_scc1 .LBB11_18
.LBB11_5:                               ; =>This Loop Header: Depth=1
                                        ;     Child Loop BB11_7 Depth 2
                                        ;       Child Loop BB11_8 Depth 3
                                        ;         Child Loop BB11_9 Depth 4
                                        ;         Child Loop BB11_11 Depth 4
	;; [unrolled: 1-line block ×4, first 2 shown]
	s_andn2_b32 vcc_lo, exec_lo, s1
	s_cbranch_vccnz .LBB11_4
; %bb.6:                                ;   in Loop: Header=BB11_5 Depth=1
	s_mul_i32 s0, s17, s6
	s_mul_hi_u32 s9, s16, s6
	s_mul_i32 s12, s16, s6
	s_add_i32 s13, s9, s0
	s_mul_i32 s0, s25, s6
	s_mul_hi_u32 s9, s24, s6
	s_lshl_b64 s[12:13], s[12:13], 1
	s_add_i32 s15, s9, s0
	s_mul_i32 s14, s24, s6
	v_add_co_u32 v28, vcc_lo, v24, s12
	s_lshl_b64 s[14:15], s[14:15], 1
	v_add_co_ci_u32_e64 v29, null, s13, v25, vcc_lo
	s_waitcnt lgkmcnt(0)
	s_add_u32 s9, s2, s14
	s_addc_u32 s11, s3, s15
	s_mov_b32 s12, 0
.LBB11_7:                               ;   Parent Loop BB11_5 Depth=1
                                        ; =>  This Loop Header: Depth=2
                                        ;       Child Loop BB11_8 Depth 3
                                        ;         Child Loop BB11_9 Depth 4
                                        ;         Child Loop BB11_11 Depth 4
	;; [unrolled: 1-line block ×4, first 2 shown]
	s_mul_i32 s0, s19, s12
	s_mul_hi_u32 s13, s18, s12
	s_mul_i32 s14, s18, s12
	s_add_i32 s15, s13, s0
	s_mul_i32 s0, s27, s12
	s_lshl_b64 s[14:15], s[14:15], 1
	s_mul_hi_u32 s13, s26, s12
	v_add_co_u32 v10, vcc_lo, v28, s14
	v_add_co_ci_u32_e64 v11, null, s15, v29, vcc_lo
	s_add_i32 s15, s13, s0
	s_mul_i32 s14, s26, s12
	global_load_ushort v2, v[10:11], off
	s_lshl_b64 s[14:15], s[14:15], 1
	s_add_u32 s13, s9, s14
	s_addc_u32 s14, s11, s15
	s_mov_b32 s15, 0
	s_waitcnt vmcnt(0)
	v_lshlrev_b32_e32 v30, 16, v2
.LBB11_8:                               ;   Parent Loop BB11_5 Depth=1
                                        ;     Parent Loop BB11_7 Depth=2
                                        ; =>    This Loop Header: Depth=3
                                        ;         Child Loop BB11_9 Depth 4
                                        ;         Child Loop BB11_11 Depth 4
                                        ;         Child Loop BB11_13 Depth 4
                                        ;         Child Loop BB11_15 Depth 4
	v_add_nc_u32_e32 v2, s15, v26
	s_cmp_eq_u32 s15, 1
	s_mov_b32 s20, 0
	v_min_i32_e32 v2, s7, v2
	v_max_i32_e32 v12, 0, v2
	v_mad_u64_u32 v[10:11], null, s28, v12, 0
	v_mov_b32_e32 v2, v11
	v_mad_u64_u32 v[11:12], null, s29, v12, v[2:3]
	v_lshlrev_b64 v[10:11], 1, v[10:11]
	v_add_co_u32 v31, vcc_lo, s13, v10
	v_add_co_ci_u32_e64 v32, null, s14, v11, vcc_lo
	v_add_co_u32 v10, vcc_lo, v31, v0
	v_add_co_ci_u32_e64 v11, null, v32, v1, vcc_lo
	v_and_b32_e32 v2, 2, v10
	v_sub_co_u32 v12, s0, 0, v2
	v_sub_co_ci_u32_e64 v13, null, 0, 0, s0
	v_cmp_eq_u64_e64 s0, 0, v[2:3]
	v_add_co_u32 v10, vcc_lo, v10, v12
	v_add_co_ci_u32_e64 v11, null, v11, v13, vcc_lo
	s_cselect_b32 vcc_lo, -1, 0
	s_cmp_eq_u32 s15, 2
	v_cndmask_b32_e32 v12, v20, v17, vcc_lo
	global_load_dword v13, v[10:11], off
	s_cselect_b32 vcc_lo, -1, 0
	s_cmp_eq_u32 s15, 3
	v_cndmask_b32_e32 v12, v12, v21, vcc_lo
	s_cselect_b32 vcc_lo, -1, 0
	v_cndmask_b32_e32 v12, v12, v23, vcc_lo
	v_mul_f32_e32 v33, v12, v30
	v_mul_f32_e32 v12, v33, v18
	v_bfe_u32 v34, v12, 16, 1
	v_cmp_o_f32_e32 vcc_lo, v12, v12
	v_add3_u32 v34, v12, v34, 0x7fff
	v_and_b32_e32 v34, 0xffff0000, v34
	v_cndmask_b32_e32 v2, 0x7fc00000, v34, vcc_lo
	.p2align	6
.LBB11_9:                               ;   Parent Loop BB11_5 Depth=1
                                        ;     Parent Loop BB11_7 Depth=2
                                        ;       Parent Loop BB11_8 Depth=3
                                        ; =>      This Inner Loop Header: Depth=4
	s_waitcnt vmcnt(0)
	v_and_b32_e32 v12, 0xffff, v13
	s_mov_b32 vcc_lo, s0
	v_cndmask_b32_sdwa v34, v13, v12, vcc_lo dst_sel:WORD_1 dst_unused:UNUSED_PAD src0_sel:WORD_1 src1_sel:DWORD
	v_add_f32_e32 v34, v2, v34
	v_bfe_u32 v35, v34, 16, 1
	v_cmp_o_f32_e32 vcc_lo, v34, v34
	v_add3_u32 v34, v34, v35, 0x7fff
	v_cndmask_b32_sdwa v34, v27, v34, vcc_lo dst_sel:DWORD dst_unused:UNUSED_PAD src0_sel:DWORD src1_sel:WORD_1
	v_lshl_or_b32 v12, v34, 16, v12
	v_and_or_b32 v34, 0xffff0000, v13, v34
	v_cndmask_b32_e64 v12, v12, v34, s0
	global_atomic_cmpswap v12, v[10:11], v[12:13], off glc
	s_waitcnt vmcnt(0)
	v_cmp_eq_u32_e32 vcc_lo, v13, v12
	v_mov_b32_e32 v13, v12
	s_or_b32 s20, vcc_lo, s20
	s_andn2_b32 exec_lo, exec_lo, s20
	s_cbranch_execnz .LBB11_9
; %bb.10:                               ;   in Loop: Header=BB11_8 Depth=3
	s_or_b32 exec_lo, exec_lo, s20
	v_add_co_u32 v10, vcc_lo, v31, v4
	v_add_co_ci_u32_e64 v11, null, v32, v5, vcc_lo
	s_mov_b32 s20, 0
	v_and_b32_e32 v2, 2, v10
	v_sub_co_u32 v12, s0, 0, v2
	v_sub_co_ci_u32_e64 v13, null, 0, 0, s0
	v_cmp_eq_u64_e64 s0, 0, v[2:3]
	v_add_co_u32 v10, vcc_lo, v10, v12
	v_add_co_ci_u32_e64 v11, null, v11, v13, vcc_lo
	v_mul_f32_e32 v12, v33, v16
	global_load_dword v13, v[10:11], off
	v_bfe_u32 v34, v12, 16, 1
	v_cmp_o_f32_e32 vcc_lo, v12, v12
	v_add3_u32 v34, v12, v34, 0x7fff
	v_and_b32_e32 v34, 0xffff0000, v34
	v_cndmask_b32_e32 v2, 0x7fc00000, v34, vcc_lo
	.p2align	6
.LBB11_11:                              ;   Parent Loop BB11_5 Depth=1
                                        ;     Parent Loop BB11_7 Depth=2
                                        ;       Parent Loop BB11_8 Depth=3
                                        ; =>      This Inner Loop Header: Depth=4
	s_waitcnt vmcnt(0)
	v_and_b32_e32 v12, 0xffff, v13
	s_mov_b32 vcc_lo, s0
	v_cndmask_b32_sdwa v34, v13, v12, vcc_lo dst_sel:WORD_1 dst_unused:UNUSED_PAD src0_sel:WORD_1 src1_sel:DWORD
	v_add_f32_e32 v34, v2, v34
	v_bfe_u32 v35, v34, 16, 1
	v_cmp_o_f32_e32 vcc_lo, v34, v34
	v_add3_u32 v34, v34, v35, 0x7fff
	v_cndmask_b32_sdwa v34, v27, v34, vcc_lo dst_sel:DWORD dst_unused:UNUSED_PAD src0_sel:DWORD src1_sel:WORD_1
	v_lshl_or_b32 v12, v34, 16, v12
	v_and_or_b32 v34, 0xffff0000, v13, v34
	v_cndmask_b32_e64 v12, v12, v34, s0
	global_atomic_cmpswap v12, v[10:11], v[12:13], off glc
	s_waitcnt vmcnt(0)
	v_cmp_eq_u32_e32 vcc_lo, v13, v12
	v_mov_b32_e32 v13, v12
	s_or_b32 s20, vcc_lo, s20
	s_andn2_b32 exec_lo, exec_lo, s20
	s_cbranch_execnz .LBB11_11
; %bb.12:                               ;   in Loop: Header=BB11_8 Depth=3
	s_or_b32 exec_lo, exec_lo, s20
	v_add_co_u32 v10, vcc_lo, v31, v6
	v_add_co_ci_u32_e64 v11, null, v32, v7, vcc_lo
	s_mov_b32 s20, 0
	v_and_b32_e32 v2, 2, v10
	v_sub_co_u32 v12, s0, 0, v2
	v_sub_co_ci_u32_e64 v13, null, 0, 0, s0
	v_cmp_eq_u64_e64 s0, 0, v[2:3]
	v_add_co_u32 v10, vcc_lo, v10, v12
	v_add_co_ci_u32_e64 v11, null, v11, v13, vcc_lo
	v_mul_f32_e32 v12, v33, v19
	global_load_dword v13, v[10:11], off
	v_bfe_u32 v34, v12, 16, 1
	v_cmp_o_f32_e32 vcc_lo, v12, v12
	v_add3_u32 v34, v12, v34, 0x7fff
	v_and_b32_e32 v34, 0xffff0000, v34
	v_cndmask_b32_e32 v2, 0x7fc00000, v34, vcc_lo
	.p2align	6
.LBB11_13:                              ;   Parent Loop BB11_5 Depth=1
                                        ;     Parent Loop BB11_7 Depth=2
                                        ;       Parent Loop BB11_8 Depth=3
                                        ; =>      This Inner Loop Header: Depth=4
	s_waitcnt vmcnt(0)
	v_and_b32_e32 v12, 0xffff, v13
	s_mov_b32 vcc_lo, s0
	v_cndmask_b32_sdwa v34, v13, v12, vcc_lo dst_sel:WORD_1 dst_unused:UNUSED_PAD src0_sel:WORD_1 src1_sel:DWORD
	v_add_f32_e32 v34, v2, v34
	v_bfe_u32 v35, v34, 16, 1
	v_cmp_o_f32_e32 vcc_lo, v34, v34
	v_add3_u32 v34, v34, v35, 0x7fff
	v_cndmask_b32_sdwa v34, v27, v34, vcc_lo dst_sel:DWORD dst_unused:UNUSED_PAD src0_sel:DWORD src1_sel:WORD_1
	v_lshl_or_b32 v12, v34, 16, v12
	v_and_or_b32 v34, 0xffff0000, v13, v34
	v_cndmask_b32_e64 v12, v12, v34, s0
	global_atomic_cmpswap v12, v[10:11], v[12:13], off glc
	s_waitcnt vmcnt(0)
	v_cmp_eq_u32_e32 vcc_lo, v13, v12
	v_mov_b32_e32 v13, v12
	s_or_b32 s20, vcc_lo, s20
	s_andn2_b32 exec_lo, exec_lo, s20
	s_cbranch_execnz .LBB11_13
; %bb.14:                               ;   in Loop: Header=BB11_8 Depth=3
	s_or_b32 exec_lo, exec_lo, s20
	v_add_co_u32 v10, vcc_lo, v31, v8
	v_add_co_ci_u32_e64 v11, null, v32, v9, vcc_lo
	s_mov_b32 s20, 0
	v_and_b32_e32 v2, 2, v10
	v_sub_co_u32 v12, s0, 0, v2
	v_sub_co_ci_u32_e64 v13, null, 0, 0, s0
	v_cmp_eq_u64_e64 s0, 0, v[2:3]
	v_add_co_u32 v10, vcc_lo, v10, v12
	v_add_co_ci_u32_e64 v11, null, v11, v13, vcc_lo
	v_mul_f32_e32 v12, v33, v22
	global_load_dword v13, v[10:11], off
	v_bfe_u32 v31, v12, 16, 1
	v_cmp_o_f32_e32 vcc_lo, v12, v12
	v_add3_u32 v31, v12, v31, 0x7fff
	v_and_b32_e32 v31, 0xffff0000, v31
	v_cndmask_b32_e32 v2, 0x7fc00000, v31, vcc_lo
	.p2align	6
.LBB11_15:                              ;   Parent Loop BB11_5 Depth=1
                                        ;     Parent Loop BB11_7 Depth=2
                                        ;       Parent Loop BB11_8 Depth=3
                                        ; =>      This Inner Loop Header: Depth=4
	s_waitcnt vmcnt(0)
	v_and_b32_e32 v12, 0xffff, v13
	s_mov_b32 vcc_lo, s0
	v_cndmask_b32_sdwa v31, v13, v12, vcc_lo dst_sel:WORD_1 dst_unused:UNUSED_PAD src0_sel:WORD_1 src1_sel:DWORD
	v_add_f32_e32 v31, v2, v31
	v_bfe_u32 v32, v31, 16, 1
	v_cmp_o_f32_e32 vcc_lo, v31, v31
	v_add3_u32 v31, v31, v32, 0x7fff
	v_cndmask_b32_sdwa v31, v27, v31, vcc_lo dst_sel:DWORD dst_unused:UNUSED_PAD src0_sel:DWORD src1_sel:WORD_1
	v_lshl_or_b32 v12, v31, 16, v12
	v_and_or_b32 v31, 0xffff0000, v13, v31
	v_cndmask_b32_e64 v12, v12, v31, s0
	global_atomic_cmpswap v12, v[10:11], v[12:13], off glc
	s_waitcnt vmcnt(0)
	v_cmp_eq_u32_e32 vcc_lo, v13, v12
	v_mov_b32_e32 v13, v12
	s_or_b32 s20, vcc_lo, s20
	s_andn2_b32 exec_lo, exec_lo, s20
	s_cbranch_execnz .LBB11_15
; %bb.16:                               ;   in Loop: Header=BB11_8 Depth=3
	s_or_b32 exec_lo, exec_lo, s20
	s_add_i32 s15, s15, 1
	s_cmp_eq_u32 s15, 4
	s_cbranch_scc0 .LBB11_8
; %bb.17:                               ;   in Loop: Header=BB11_7 Depth=2
	s_add_i32 s12, s12, 1
	s_cmp_eq_u32 s12, s10
	s_cbranch_scc0 .LBB11_7
	s_branch .LBB11_4
.LBB11_18:
	s_mov_b32 s0, 0
.LBB11_19:
	s_andn2_b32 vcc_lo, exec_lo, s0
	s_cbranch_vccnz .LBB11_25
; %bb.20:
	s_cmp_lt_i32 s8, 1
	s_cbranch_scc1 .LBB11_25
; %bb.21:
	s_clause 0x1
	s_load_dwordx8 s[12:19], s[4:5], 0x80
	s_load_dwordx8 s[20:27], s[4:5], 0x38
	v_ashrrev_i32_e32 v4, 31, v14
	s_load_dwordx2 s[0:1], s[4:5], 0x10
	s_waitcnt lgkmcnt(0)
	s_load_dwordx2 s[2:3], s[4:5], 0x58
	v_ashrrev_i32_e32 v6, 31, v15
	s_cmp_gt_i32 s10, 0
	s_mov_b32 s9, 0
	s_cselect_b32 s11, -1, 0
	v_mul_lo_u32 v8, s17, v14
	v_mul_lo_u32 v9, s16, v4
	v_mad_u64_u32 v[0:1], null, s16, v14, 0
	v_mul_lo_u32 v12, s25, v14
	v_mul_lo_u32 v13, s24, v4
	v_mad_u64_u32 v[4:5], null, s24, v14, 0
	;; [unrolled: 3-line block ×4, first 2 shown]
	v_add3_u32 v1, v1, v9, v8
	v_add3_u32 v5, v5, v13, v12
	v_add3_u32 v3, v3, v11, v10
	s_lshl_b64 s[4:5], s[12:13], 1
	s_lshl_b64 s[6:7], s[14:15], 1
	v_lshlrev_b64 v[0:1], 1, v[0:1]
	v_add3_u32 v7, v7, v16, v14
	v_lshlrev_b64 v[4:5], 1, v[4:5]
	v_lshlrev_b64 v[2:3], 1, v[2:3]
	s_waitcnt lgkmcnt(0)
	v_add_co_u32 v0, vcc_lo, s2, v0
	v_lshlrev_b64 v[6:7], 1, v[6:7]
	v_add_co_ci_u32_e64 v1, null, s3, v1, vcc_lo
	v_add_co_u32 v4, vcc_lo, s0, v4
	v_add_co_ci_u32_e64 v5, null, s1, v5, vcc_lo
	v_add_co_u32 v0, vcc_lo, v0, v2
	;; [unrolled: 2-line block ×3, first 2 shown]
	v_add_co_ci_u32_e64 v3, null, v5, v7, vcc_lo
	s_lshl_b64 s[0:1], s[20:21], 1
	s_lshl_b64 s[2:3], s[22:23], 1
	s_inst_prefetch 0x1
	s_branch .LBB11_23
	.p2align	6
.LBB11_22:                              ;   in Loop: Header=BB11_23 Depth=1
	v_add_co_u32 v2, vcc_lo, v2, s0
	v_add_co_ci_u32_e64 v3, null, s1, v3, vcc_lo
	v_add_co_u32 v0, vcc_lo, v0, s4
	v_add_co_ci_u32_e64 v1, null, s5, v1, vcc_lo
	s_add_i32 s9, s9, 1
	s_cmp_eq_u32 s9, s8
	s_cbranch_scc1 .LBB11_25
.LBB11_23:                              ; =>This Loop Header: Depth=1
                                        ;     Child Loop BB11_24 Depth 2
	v_mov_b32_e32 v5, v1
	v_mov_b32_e32 v7, v3
	;; [unrolled: 1-line block ×4, first 2 shown]
	s_andn2_b32 vcc_lo, exec_lo, s11
	s_mov_b32 s12, s10
	s_cbranch_vccnz .LBB11_22
.LBB11_24:                              ;   Parent Loop BB11_23 Depth=1
                                        ; =>  This Inner Loop Header: Depth=2
	global_load_ushort v8, v[4:5], off
	v_add_co_u32 v4, vcc_lo, v4, s6
	v_add_co_ci_u32_e64 v5, null, s7, v5, vcc_lo
	s_add_i32 s12, s12, -1
	s_cmp_eq_u32 s12, 0
	s_waitcnt vmcnt(0)
	global_store_short v[6:7], v8, off
	v_add_co_u32 v6, vcc_lo, v6, s2
	v_add_co_ci_u32_e64 v7, null, s3, v7, vcc_lo
	s_cbranch_scc0 .LBB11_24
	s_branch .LBB11_22
.LBB11_25:
	s_inst_prefetch 0x2
	s_endpgm
	.section	.rodata,"a",@progbits
	.p2align	6, 0x0
	.amdhsa_kernel _ZN2at6native12_GLOBAL__N_137upsample_bicubic2d_backward_out_frameIN3c108BFloat16EfEEviT0_S5_bN5torch10headeronly6detail27GenericPackedTensorAccessorINS8_14TensorAccessorINS3_8ArrayRefIlEET_Lm3ENS7_16DefaultPtrTraitsElEENS_6detail16IndexBoundsCheckILm4ElEESD_Lm4ESE_lEENS9_INSA_ISC_KSD_Lm3ESE_lEESI_SK_Lm4ESE_lEE
		.amdhsa_group_segment_fixed_size 0
		.amdhsa_private_segment_fixed_size 0
		.amdhsa_kernarg_size 416
		.amdhsa_user_sgpr_count 6
		.amdhsa_user_sgpr_private_segment_buffer 1
		.amdhsa_user_sgpr_dispatch_ptr 0
		.amdhsa_user_sgpr_queue_ptr 0
		.amdhsa_user_sgpr_kernarg_segment_ptr 1
		.amdhsa_user_sgpr_dispatch_id 0
		.amdhsa_user_sgpr_flat_scratch_init 0
		.amdhsa_user_sgpr_private_segment_size 0
		.amdhsa_wavefront_size32 1
		.amdhsa_uses_dynamic_stack 0
		.amdhsa_system_sgpr_private_segment_wavefront_offset 0
		.amdhsa_system_sgpr_workgroup_id_x 1
		.amdhsa_system_sgpr_workgroup_id_y 0
		.amdhsa_system_sgpr_workgroup_id_z 0
		.amdhsa_system_sgpr_workgroup_info 0
		.amdhsa_system_vgpr_workitem_id 0
		.amdhsa_next_free_vgpr 36
		.amdhsa_next_free_sgpr 32
		.amdhsa_reserve_vcc 1
		.amdhsa_reserve_flat_scratch 0
		.amdhsa_float_round_mode_32 0
		.amdhsa_float_round_mode_16_64 0
		.amdhsa_float_denorm_mode_32 3
		.amdhsa_float_denorm_mode_16_64 3
		.amdhsa_dx10_clamp 1
		.amdhsa_ieee_mode 1
		.amdhsa_fp16_overflow 0
		.amdhsa_workgroup_processor_mode 1
		.amdhsa_memory_ordered 1
		.amdhsa_forward_progress 1
		.amdhsa_shared_vgpr_count 0
		.amdhsa_exception_fp_ieee_invalid_op 0
		.amdhsa_exception_fp_denorm_src 0
		.amdhsa_exception_fp_ieee_div_zero 0
		.amdhsa_exception_fp_ieee_overflow 0
		.amdhsa_exception_fp_ieee_underflow 0
		.amdhsa_exception_fp_ieee_inexact 0
		.amdhsa_exception_int_div_zero 0
	.end_amdhsa_kernel
	.section	.text._ZN2at6native12_GLOBAL__N_137upsample_bicubic2d_backward_out_frameIN3c108BFloat16EfEEviT0_S5_bN5torch10headeronly6detail27GenericPackedTensorAccessorINS8_14TensorAccessorINS3_8ArrayRefIlEET_Lm3ENS7_16DefaultPtrTraitsElEENS_6detail16IndexBoundsCheckILm4ElEESD_Lm4ESE_lEENS9_INSA_ISC_KSD_Lm3ESE_lEESI_SK_Lm4ESE_lEE,"axG",@progbits,_ZN2at6native12_GLOBAL__N_137upsample_bicubic2d_backward_out_frameIN3c108BFloat16EfEEviT0_S5_bN5torch10headeronly6detail27GenericPackedTensorAccessorINS8_14TensorAccessorINS3_8ArrayRefIlEET_Lm3ENS7_16DefaultPtrTraitsElEENS_6detail16IndexBoundsCheckILm4ElEESD_Lm4ESE_lEENS9_INSA_ISC_KSD_Lm3ESE_lEESI_SK_Lm4ESE_lEE,comdat
.Lfunc_end11:
	.size	_ZN2at6native12_GLOBAL__N_137upsample_bicubic2d_backward_out_frameIN3c108BFloat16EfEEviT0_S5_bN5torch10headeronly6detail27GenericPackedTensorAccessorINS8_14TensorAccessorINS3_8ArrayRefIlEET_Lm3ENS7_16DefaultPtrTraitsElEENS_6detail16IndexBoundsCheckILm4ElEESD_Lm4ESE_lEENS9_INSA_ISC_KSD_Lm3ESE_lEESI_SK_Lm4ESE_lEE, .Lfunc_end11-_ZN2at6native12_GLOBAL__N_137upsample_bicubic2d_backward_out_frameIN3c108BFloat16EfEEviT0_S5_bN5torch10headeronly6detail27GenericPackedTensorAccessorINS8_14TensorAccessorINS3_8ArrayRefIlEET_Lm3ENS7_16DefaultPtrTraitsElEENS_6detail16IndexBoundsCheckILm4ElEESD_Lm4ESE_lEENS9_INSA_ISC_KSD_Lm3ESE_lEESI_SK_Lm4ESE_lEE
                                        ; -- End function
	.set _ZN2at6native12_GLOBAL__N_137upsample_bicubic2d_backward_out_frameIN3c108BFloat16EfEEviT0_S5_bN5torch10headeronly6detail27GenericPackedTensorAccessorINS8_14TensorAccessorINS3_8ArrayRefIlEET_Lm3ENS7_16DefaultPtrTraitsElEENS_6detail16IndexBoundsCheckILm4ElEESD_Lm4ESE_lEENS9_INSA_ISC_KSD_Lm3ESE_lEESI_SK_Lm4ESE_lEE.num_vgpr, 36
	.set _ZN2at6native12_GLOBAL__N_137upsample_bicubic2d_backward_out_frameIN3c108BFloat16EfEEviT0_S5_bN5torch10headeronly6detail27GenericPackedTensorAccessorINS8_14TensorAccessorINS3_8ArrayRefIlEET_Lm3ENS7_16DefaultPtrTraitsElEENS_6detail16IndexBoundsCheckILm4ElEESD_Lm4ESE_lEENS9_INSA_ISC_KSD_Lm3ESE_lEESI_SK_Lm4ESE_lEE.num_agpr, 0
	.set _ZN2at6native12_GLOBAL__N_137upsample_bicubic2d_backward_out_frameIN3c108BFloat16EfEEviT0_S5_bN5torch10headeronly6detail27GenericPackedTensorAccessorINS8_14TensorAccessorINS3_8ArrayRefIlEET_Lm3ENS7_16DefaultPtrTraitsElEENS_6detail16IndexBoundsCheckILm4ElEESD_Lm4ESE_lEENS9_INSA_ISC_KSD_Lm3ESE_lEESI_SK_Lm4ESE_lEE.numbered_sgpr, 32
	.set _ZN2at6native12_GLOBAL__N_137upsample_bicubic2d_backward_out_frameIN3c108BFloat16EfEEviT0_S5_bN5torch10headeronly6detail27GenericPackedTensorAccessorINS8_14TensorAccessorINS3_8ArrayRefIlEET_Lm3ENS7_16DefaultPtrTraitsElEENS_6detail16IndexBoundsCheckILm4ElEESD_Lm4ESE_lEENS9_INSA_ISC_KSD_Lm3ESE_lEESI_SK_Lm4ESE_lEE.num_named_barrier, 0
	.set _ZN2at6native12_GLOBAL__N_137upsample_bicubic2d_backward_out_frameIN3c108BFloat16EfEEviT0_S5_bN5torch10headeronly6detail27GenericPackedTensorAccessorINS8_14TensorAccessorINS3_8ArrayRefIlEET_Lm3ENS7_16DefaultPtrTraitsElEENS_6detail16IndexBoundsCheckILm4ElEESD_Lm4ESE_lEENS9_INSA_ISC_KSD_Lm3ESE_lEESI_SK_Lm4ESE_lEE.private_seg_size, 0
	.set _ZN2at6native12_GLOBAL__N_137upsample_bicubic2d_backward_out_frameIN3c108BFloat16EfEEviT0_S5_bN5torch10headeronly6detail27GenericPackedTensorAccessorINS8_14TensorAccessorINS3_8ArrayRefIlEET_Lm3ENS7_16DefaultPtrTraitsElEENS_6detail16IndexBoundsCheckILm4ElEESD_Lm4ESE_lEENS9_INSA_ISC_KSD_Lm3ESE_lEESI_SK_Lm4ESE_lEE.uses_vcc, 1
	.set _ZN2at6native12_GLOBAL__N_137upsample_bicubic2d_backward_out_frameIN3c108BFloat16EfEEviT0_S5_bN5torch10headeronly6detail27GenericPackedTensorAccessorINS8_14TensorAccessorINS3_8ArrayRefIlEET_Lm3ENS7_16DefaultPtrTraitsElEENS_6detail16IndexBoundsCheckILm4ElEESD_Lm4ESE_lEENS9_INSA_ISC_KSD_Lm3ESE_lEESI_SK_Lm4ESE_lEE.uses_flat_scratch, 0
	.set _ZN2at6native12_GLOBAL__N_137upsample_bicubic2d_backward_out_frameIN3c108BFloat16EfEEviT0_S5_bN5torch10headeronly6detail27GenericPackedTensorAccessorINS8_14TensorAccessorINS3_8ArrayRefIlEET_Lm3ENS7_16DefaultPtrTraitsElEENS_6detail16IndexBoundsCheckILm4ElEESD_Lm4ESE_lEENS9_INSA_ISC_KSD_Lm3ESE_lEESI_SK_Lm4ESE_lEE.has_dyn_sized_stack, 0
	.set _ZN2at6native12_GLOBAL__N_137upsample_bicubic2d_backward_out_frameIN3c108BFloat16EfEEviT0_S5_bN5torch10headeronly6detail27GenericPackedTensorAccessorINS8_14TensorAccessorINS3_8ArrayRefIlEET_Lm3ENS7_16DefaultPtrTraitsElEENS_6detail16IndexBoundsCheckILm4ElEESD_Lm4ESE_lEENS9_INSA_ISC_KSD_Lm3ESE_lEESI_SK_Lm4ESE_lEE.has_recursion, 0
	.set _ZN2at6native12_GLOBAL__N_137upsample_bicubic2d_backward_out_frameIN3c108BFloat16EfEEviT0_S5_bN5torch10headeronly6detail27GenericPackedTensorAccessorINS8_14TensorAccessorINS3_8ArrayRefIlEET_Lm3ENS7_16DefaultPtrTraitsElEENS_6detail16IndexBoundsCheckILm4ElEESD_Lm4ESE_lEENS9_INSA_ISC_KSD_Lm3ESE_lEESI_SK_Lm4ESE_lEE.has_indirect_call, 0
	.section	.AMDGPU.csdata,"",@progbits
; Kernel info:
; codeLenInByte = 2772
; TotalNumSgprs: 34
; NumVgprs: 36
; ScratchSize: 0
; MemoryBound: 0
; FloatMode: 240
; IeeeMode: 1
; LDSByteSize: 0 bytes/workgroup (compile time only)
; SGPRBlocks: 0
; VGPRBlocks: 4
; NumSGPRsForWavesPerEU: 34
; NumVGPRsForWavesPerEU: 36
; Occupancy: 16
; WaveLimiterHint : 1
; COMPUTE_PGM_RSRC2:SCRATCH_EN: 0
; COMPUTE_PGM_RSRC2:USER_SGPR: 6
; COMPUTE_PGM_RSRC2:TRAP_HANDLER: 0
; COMPUTE_PGM_RSRC2:TGID_X_EN: 1
; COMPUTE_PGM_RSRC2:TGID_Y_EN: 0
; COMPUTE_PGM_RSRC2:TGID_Z_EN: 0
; COMPUTE_PGM_RSRC2:TIDIG_COMP_CNT: 0
	.section	.AMDGPU.gpr_maximums,"",@progbits
	.set amdgpu.max_num_vgpr, 0
	.set amdgpu.max_num_agpr, 0
	.set amdgpu.max_num_sgpr, 0
	.section	.AMDGPU.csdata,"",@progbits
	.type	__hip_cuid_b4646964d9051e7e,@object ; @__hip_cuid_b4646964d9051e7e
	.section	.bss,"aw",@nobits
	.globl	__hip_cuid_b4646964d9051e7e
__hip_cuid_b4646964d9051e7e:
	.byte	0                               ; 0x0
	.size	__hip_cuid_b4646964d9051e7e, 1

	.ident	"AMD clang version 22.0.0git (https://github.com/RadeonOpenCompute/llvm-project roc-7.2.4 26084 f58b06dce1f9c15707c5f808fd002e18c2accf7e)"
	.section	".note.GNU-stack","",@progbits
	.addrsig
	.addrsig_sym __hip_cuid_b4646964d9051e7e
	.amdgpu_metadata
---
amdhsa.kernels:
  - .args:
      - .offset:         0
        .size:           4
        .value_kind:     by_value
      - .offset:         8
        .size:           8
        .value_kind:     by_value
      - .offset:         16
        .size:           8
        .value_kind:     by_value
      - .offset:         24
        .size:           1
        .value_kind:     by_value
      - .offset:         32
        .size:           72
        .value_kind:     by_value
      - .offset:         104
        .size:           72
        .value_kind:     by_value
      - .offset:         176
        .size:           4
        .value_kind:     hidden_block_count_x
      - .offset:         180
        .size:           4
        .value_kind:     hidden_block_count_y
      - .offset:         184
        .size:           4
        .value_kind:     hidden_block_count_z
      - .offset:         188
        .size:           2
        .value_kind:     hidden_group_size_x
      - .offset:         190
        .size:           2
        .value_kind:     hidden_group_size_y
      - .offset:         192
        .size:           2
        .value_kind:     hidden_group_size_z
      - .offset:         194
        .size:           2
        .value_kind:     hidden_remainder_x
      - .offset:         196
        .size:           2
        .value_kind:     hidden_remainder_y
      - .offset:         198
        .size:           2
        .value_kind:     hidden_remainder_z
      - .offset:         216
        .size:           8
        .value_kind:     hidden_global_offset_x
      - .offset:         224
        .size:           8
        .value_kind:     hidden_global_offset_y
      - .offset:         232
        .size:           8
        .value_kind:     hidden_global_offset_z
      - .offset:         240
        .size:           2
        .value_kind:     hidden_grid_dims
    .group_segment_fixed_size: 0
    .kernarg_segment_align: 8
    .kernarg_segment_size: 432
    .language:       OpenCL C
    .language_version:
      - 2
      - 0
    .max_flat_workgroup_size: 1024
    .name:           _ZN2at6native12_GLOBAL__N_137upsample_bicubic2d_out_frame_parallelIddEEviT0_S3_bN5torch10headeronly6detail27GenericPackedTensorAccessorINS6_14TensorAccessorIN3c108ArrayRefIlEEKT_Lm3ENS5_16DefaultPtrTraitsElEENS_6detail16IndexBoundsCheckILm4ElEESD_Lm4ESE_lEENS7_INS8_ISB_SC_Lm3ESE_lEESI_SC_Lm4ESE_lEE
    .private_segment_fixed_size: 0
    .sgpr_count:     46
    .sgpr_spill_count: 0
    .symbol:         _ZN2at6native12_GLOBAL__N_137upsample_bicubic2d_out_frame_parallelIddEEviT0_S3_bN5torch10headeronly6detail27GenericPackedTensorAccessorINS6_14TensorAccessorIN3c108ArrayRefIlEEKT_Lm3ENS5_16DefaultPtrTraitsElEENS_6detail16IndexBoundsCheckILm4ElEESD_Lm4ESE_lEENS7_INS8_ISB_SC_Lm3ESE_lEESI_SC_Lm4ESE_lEE.kd
    .uniform_work_group_size: 1
    .uses_dynamic_stack: false
    .vgpr_count:     62
    .vgpr_spill_count: 0
    .wavefront_size: 32
    .workgroup_processor_mode: 1
  - .args:
      - .offset:         0
        .size:           4
        .value_kind:     by_value
      - .offset:         8
        .size:           8
        .value_kind:     by_value
      - .offset:         16
        .size:           8
        .value_kind:     by_value
      - .offset:         24
        .size:           1
        .value_kind:     by_value
      - .offset:         32
        .size:           72
        .value_kind:     by_value
      - .offset:         104
        .size:           72
        .value_kind:     by_value
      - .offset:         176
        .size:           4
        .value_kind:     hidden_block_count_x
      - .offset:         180
        .size:           4
        .value_kind:     hidden_block_count_y
      - .offset:         184
        .size:           4
        .value_kind:     hidden_block_count_z
      - .offset:         188
        .size:           2
        .value_kind:     hidden_group_size_x
      - .offset:         190
        .size:           2
        .value_kind:     hidden_group_size_y
      - .offset:         192
        .size:           2
        .value_kind:     hidden_group_size_z
      - .offset:         194
        .size:           2
        .value_kind:     hidden_remainder_x
      - .offset:         196
        .size:           2
        .value_kind:     hidden_remainder_y
      - .offset:         198
        .size:           2
        .value_kind:     hidden_remainder_z
      - .offset:         216
        .size:           8
        .value_kind:     hidden_global_offset_x
      - .offset:         224
        .size:           8
        .value_kind:     hidden_global_offset_y
      - .offset:         232
        .size:           8
        .value_kind:     hidden_global_offset_z
      - .offset:         240
        .size:           2
        .value_kind:     hidden_grid_dims
    .group_segment_fixed_size: 0
    .kernarg_segment_align: 8
    .kernarg_segment_size: 432
    .language:       OpenCL C
    .language_version:
      - 2
      - 0
    .max_flat_workgroup_size: 1024
    .name:           _ZN2at6native12_GLOBAL__N_128upsample_bicubic2d_out_frameIddEEviT0_S3_bN5torch10headeronly6detail27GenericPackedTensorAccessorINS6_14TensorAccessorIN3c108ArrayRefIlEEKT_Lm3ENS5_16DefaultPtrTraitsElEENS_6detail16IndexBoundsCheckILm4ElEESD_Lm4ESE_lEENS7_INS8_ISB_SC_Lm3ESE_lEESI_SC_Lm4ESE_lEE
    .private_segment_fixed_size: 0
    .sgpr_count:     40
    .sgpr_spill_count: 0
    .symbol:         _ZN2at6native12_GLOBAL__N_128upsample_bicubic2d_out_frameIddEEviT0_S3_bN5torch10headeronly6detail27GenericPackedTensorAccessorINS6_14TensorAccessorIN3c108ArrayRefIlEEKT_Lm3ENS5_16DefaultPtrTraitsElEENS_6detail16IndexBoundsCheckILm4ElEESD_Lm4ESE_lEENS7_INS8_ISB_SC_Lm3ESE_lEESI_SC_Lm4ESE_lEE.kd
    .uniform_work_group_size: 1
    .uses_dynamic_stack: false
    .vgpr_count:     80
    .vgpr_spill_count: 0
    .wavefront_size: 32
    .workgroup_processor_mode: 1
  - .args:
      - .offset:         0
        .size:           4
        .value_kind:     by_value
      - .offset:         4
        .size:           4
        .value_kind:     by_value
      - .offset:         8
        .size:           4
        .value_kind:     by_value
      - .offset:         12
        .size:           1
        .value_kind:     by_value
      - .offset:         16
        .size:           72
        .value_kind:     by_value
      - .offset:         88
        .size:           72
        .value_kind:     by_value
      - .offset:         160
        .size:           4
        .value_kind:     hidden_block_count_x
      - .offset:         164
        .size:           4
        .value_kind:     hidden_block_count_y
      - .offset:         168
        .size:           4
        .value_kind:     hidden_block_count_z
      - .offset:         172
        .size:           2
        .value_kind:     hidden_group_size_x
      - .offset:         174
        .size:           2
        .value_kind:     hidden_group_size_y
      - .offset:         176
        .size:           2
        .value_kind:     hidden_group_size_z
      - .offset:         178
        .size:           2
        .value_kind:     hidden_remainder_x
      - .offset:         180
        .size:           2
        .value_kind:     hidden_remainder_y
      - .offset:         182
        .size:           2
        .value_kind:     hidden_remainder_z
      - .offset:         200
        .size:           8
        .value_kind:     hidden_global_offset_x
      - .offset:         208
        .size:           8
        .value_kind:     hidden_global_offset_y
      - .offset:         216
        .size:           8
        .value_kind:     hidden_global_offset_z
      - .offset:         224
        .size:           2
        .value_kind:     hidden_grid_dims
    .group_segment_fixed_size: 0
    .kernarg_segment_align: 8
    .kernarg_segment_size: 416
    .language:       OpenCL C
    .language_version:
      - 2
      - 0
    .max_flat_workgroup_size: 1024
    .name:           _ZN2at6native12_GLOBAL__N_137upsample_bicubic2d_out_frame_parallelIffEEviT0_S3_bN5torch10headeronly6detail27GenericPackedTensorAccessorINS6_14TensorAccessorIN3c108ArrayRefIlEEKT_Lm3ENS5_16DefaultPtrTraitsElEENS_6detail16IndexBoundsCheckILm4ElEESD_Lm4ESE_lEENS7_INS8_ISB_SC_Lm3ESE_lEESI_SC_Lm4ESE_lEE
    .private_segment_fixed_size: 0
    .sgpr_count:     46
    .sgpr_spill_count: 0
    .symbol:         _ZN2at6native12_GLOBAL__N_137upsample_bicubic2d_out_frame_parallelIffEEviT0_S3_bN5torch10headeronly6detail27GenericPackedTensorAccessorINS6_14TensorAccessorIN3c108ArrayRefIlEEKT_Lm3ENS5_16DefaultPtrTraitsElEENS_6detail16IndexBoundsCheckILm4ElEESD_Lm4ESE_lEENS7_INS8_ISB_SC_Lm3ESE_lEESI_SC_Lm4ESE_lEE.kd
    .uniform_work_group_size: 1
    .uses_dynamic_stack: false
    .vgpr_count:     60
    .vgpr_spill_count: 0
    .wavefront_size: 32
    .workgroup_processor_mode: 1
  - .args:
      - .offset:         0
        .size:           4
        .value_kind:     by_value
      - .offset:         4
        .size:           4
        .value_kind:     by_value
      - .offset:         8
        .size:           4
        .value_kind:     by_value
      - .offset:         12
        .size:           1
        .value_kind:     by_value
      - .offset:         16
        .size:           72
        .value_kind:     by_value
      - .offset:         88
        .size:           72
        .value_kind:     by_value
      - .offset:         160
        .size:           4
        .value_kind:     hidden_block_count_x
      - .offset:         164
        .size:           4
        .value_kind:     hidden_block_count_y
      - .offset:         168
        .size:           4
        .value_kind:     hidden_block_count_z
      - .offset:         172
        .size:           2
        .value_kind:     hidden_group_size_x
      - .offset:         174
        .size:           2
        .value_kind:     hidden_group_size_y
      - .offset:         176
        .size:           2
        .value_kind:     hidden_group_size_z
      - .offset:         178
        .size:           2
        .value_kind:     hidden_remainder_x
      - .offset:         180
        .size:           2
        .value_kind:     hidden_remainder_y
      - .offset:         182
        .size:           2
        .value_kind:     hidden_remainder_z
      - .offset:         200
        .size:           8
        .value_kind:     hidden_global_offset_x
      - .offset:         208
        .size:           8
        .value_kind:     hidden_global_offset_y
      - .offset:         216
        .size:           8
        .value_kind:     hidden_global_offset_z
      - .offset:         224
        .size:           2
        .value_kind:     hidden_grid_dims
    .group_segment_fixed_size: 0
    .kernarg_segment_align: 8
    .kernarg_segment_size: 416
    .language:       OpenCL C
    .language_version:
      - 2
      - 0
    .max_flat_workgroup_size: 1024
    .name:           _ZN2at6native12_GLOBAL__N_128upsample_bicubic2d_out_frameIffEEviT0_S3_bN5torch10headeronly6detail27GenericPackedTensorAccessorINS6_14TensorAccessorIN3c108ArrayRefIlEEKT_Lm3ENS5_16DefaultPtrTraitsElEENS_6detail16IndexBoundsCheckILm4ElEESD_Lm4ESE_lEENS7_INS8_ISB_SC_Lm3ESE_lEESI_SC_Lm4ESE_lEE
    .private_segment_fixed_size: 0
    .sgpr_count:     36
    .sgpr_spill_count: 0
    .symbol:         _ZN2at6native12_GLOBAL__N_128upsample_bicubic2d_out_frameIffEEviT0_S3_bN5torch10headeronly6detail27GenericPackedTensorAccessorINS6_14TensorAccessorIN3c108ArrayRefIlEEKT_Lm3ENS5_16DefaultPtrTraitsElEENS_6detail16IndexBoundsCheckILm4ElEESD_Lm4ESE_lEENS7_INS8_ISB_SC_Lm3ESE_lEESI_SC_Lm4ESE_lEE.kd
    .uniform_work_group_size: 1
    .uses_dynamic_stack: false
    .vgpr_count:     68
    .vgpr_spill_count: 0
    .wavefront_size: 32
    .workgroup_processor_mode: 1
  - .args:
      - .offset:         0
        .size:           4
        .value_kind:     by_value
      - .offset:         4
        .size:           4
        .value_kind:     by_value
      - .offset:         8
        .size:           4
        .value_kind:     by_value
      - .offset:         12
        .size:           1
        .value_kind:     by_value
      - .offset:         16
        .size:           72
        .value_kind:     by_value
      - .offset:         88
        .size:           72
        .value_kind:     by_value
      - .offset:         160
        .size:           4
        .value_kind:     hidden_block_count_x
      - .offset:         164
        .size:           4
        .value_kind:     hidden_block_count_y
      - .offset:         168
        .size:           4
        .value_kind:     hidden_block_count_z
      - .offset:         172
        .size:           2
        .value_kind:     hidden_group_size_x
      - .offset:         174
        .size:           2
        .value_kind:     hidden_group_size_y
      - .offset:         176
        .size:           2
        .value_kind:     hidden_group_size_z
      - .offset:         178
        .size:           2
        .value_kind:     hidden_remainder_x
      - .offset:         180
        .size:           2
        .value_kind:     hidden_remainder_y
      - .offset:         182
        .size:           2
        .value_kind:     hidden_remainder_z
      - .offset:         200
        .size:           8
        .value_kind:     hidden_global_offset_x
      - .offset:         208
        .size:           8
        .value_kind:     hidden_global_offset_y
      - .offset:         216
        .size:           8
        .value_kind:     hidden_global_offset_z
      - .offset:         224
        .size:           2
        .value_kind:     hidden_grid_dims
    .group_segment_fixed_size: 0
    .kernarg_segment_align: 8
    .kernarg_segment_size: 416
    .language:       OpenCL C
    .language_version:
      - 2
      - 0
    .max_flat_workgroup_size: 1024
    .name:           _ZN2at6native12_GLOBAL__N_137upsample_bicubic2d_out_frame_parallelIN3c104HalfEfEEviT0_S5_bN5torch10headeronly6detail27GenericPackedTensorAccessorINS8_14TensorAccessorINS3_8ArrayRefIlEEKT_Lm3ENS7_16DefaultPtrTraitsElEENS_6detail16IndexBoundsCheckILm4ElEESE_Lm4ESF_lEENS9_INSA_ISC_SD_Lm3ESF_lEESJ_SD_Lm4ESF_lEE
    .private_segment_fixed_size: 0
    .sgpr_count:     46
    .sgpr_spill_count: 0
    .symbol:         _ZN2at6native12_GLOBAL__N_137upsample_bicubic2d_out_frame_parallelIN3c104HalfEfEEviT0_S5_bN5torch10headeronly6detail27GenericPackedTensorAccessorINS8_14TensorAccessorINS3_8ArrayRefIlEEKT_Lm3ENS7_16DefaultPtrTraitsElEENS_6detail16IndexBoundsCheckILm4ElEESE_Lm4ESF_lEENS9_INSA_ISC_SD_Lm3ESF_lEESJ_SD_Lm4ESF_lEE.kd
    .uniform_work_group_size: 1
    .uses_dynamic_stack: false
    .vgpr_count:     59
    .vgpr_spill_count: 0
    .wavefront_size: 32
    .workgroup_processor_mode: 1
  - .args:
      - .offset:         0
        .size:           4
        .value_kind:     by_value
      - .offset:         4
        .size:           4
        .value_kind:     by_value
      - .offset:         8
        .size:           4
        .value_kind:     by_value
      - .offset:         12
        .size:           1
        .value_kind:     by_value
      - .offset:         16
        .size:           72
        .value_kind:     by_value
      - .offset:         88
        .size:           72
        .value_kind:     by_value
      - .offset:         160
        .size:           4
        .value_kind:     hidden_block_count_x
      - .offset:         164
        .size:           4
        .value_kind:     hidden_block_count_y
      - .offset:         168
        .size:           4
        .value_kind:     hidden_block_count_z
      - .offset:         172
        .size:           2
        .value_kind:     hidden_group_size_x
      - .offset:         174
        .size:           2
        .value_kind:     hidden_group_size_y
      - .offset:         176
        .size:           2
        .value_kind:     hidden_group_size_z
      - .offset:         178
        .size:           2
        .value_kind:     hidden_remainder_x
      - .offset:         180
        .size:           2
        .value_kind:     hidden_remainder_y
      - .offset:         182
        .size:           2
        .value_kind:     hidden_remainder_z
      - .offset:         200
        .size:           8
        .value_kind:     hidden_global_offset_x
      - .offset:         208
        .size:           8
        .value_kind:     hidden_global_offset_y
      - .offset:         216
        .size:           8
        .value_kind:     hidden_global_offset_z
      - .offset:         224
        .size:           2
        .value_kind:     hidden_grid_dims
    .group_segment_fixed_size: 0
    .kernarg_segment_align: 8
    .kernarg_segment_size: 416
    .language:       OpenCL C
    .language_version:
      - 2
      - 0
    .max_flat_workgroup_size: 1024
    .name:           _ZN2at6native12_GLOBAL__N_128upsample_bicubic2d_out_frameIN3c104HalfEfEEviT0_S5_bN5torch10headeronly6detail27GenericPackedTensorAccessorINS8_14TensorAccessorINS3_8ArrayRefIlEEKT_Lm3ENS7_16DefaultPtrTraitsElEENS_6detail16IndexBoundsCheckILm4ElEESE_Lm4ESF_lEENS9_INSA_ISC_SD_Lm3ESF_lEESJ_SD_Lm4ESF_lEE
    .private_segment_fixed_size: 0
    .sgpr_count:     36
    .sgpr_spill_count: 0
    .symbol:         _ZN2at6native12_GLOBAL__N_128upsample_bicubic2d_out_frameIN3c104HalfEfEEviT0_S5_bN5torch10headeronly6detail27GenericPackedTensorAccessorINS8_14TensorAccessorINS3_8ArrayRefIlEEKT_Lm3ENS7_16DefaultPtrTraitsElEENS_6detail16IndexBoundsCheckILm4ElEESE_Lm4ESF_lEENS9_INSA_ISC_SD_Lm3ESF_lEESJ_SD_Lm4ESF_lEE.kd
    .uniform_work_group_size: 1
    .uses_dynamic_stack: false
    .vgpr_count:     68
    .vgpr_spill_count: 0
    .wavefront_size: 32
    .workgroup_processor_mode: 1
  - .args:
      - .offset:         0
        .size:           4
        .value_kind:     by_value
      - .offset:         4
        .size:           4
        .value_kind:     by_value
      - .offset:         8
        .size:           4
        .value_kind:     by_value
      - .offset:         12
        .size:           1
        .value_kind:     by_value
      - .offset:         16
        .size:           72
        .value_kind:     by_value
      - .offset:         88
        .size:           72
        .value_kind:     by_value
      - .offset:         160
        .size:           4
        .value_kind:     hidden_block_count_x
      - .offset:         164
        .size:           4
        .value_kind:     hidden_block_count_y
      - .offset:         168
        .size:           4
        .value_kind:     hidden_block_count_z
      - .offset:         172
        .size:           2
        .value_kind:     hidden_group_size_x
      - .offset:         174
        .size:           2
        .value_kind:     hidden_group_size_y
      - .offset:         176
        .size:           2
        .value_kind:     hidden_group_size_z
      - .offset:         178
        .size:           2
        .value_kind:     hidden_remainder_x
      - .offset:         180
        .size:           2
        .value_kind:     hidden_remainder_y
      - .offset:         182
        .size:           2
        .value_kind:     hidden_remainder_z
      - .offset:         200
        .size:           8
        .value_kind:     hidden_global_offset_x
      - .offset:         208
        .size:           8
        .value_kind:     hidden_global_offset_y
      - .offset:         216
        .size:           8
        .value_kind:     hidden_global_offset_z
      - .offset:         224
        .size:           2
        .value_kind:     hidden_grid_dims
    .group_segment_fixed_size: 0
    .kernarg_segment_align: 8
    .kernarg_segment_size: 416
    .language:       OpenCL C
    .language_version:
      - 2
      - 0
    .max_flat_workgroup_size: 1024
    .name:           _ZN2at6native12_GLOBAL__N_137upsample_bicubic2d_out_frame_parallelIN3c108BFloat16EfEEviT0_S5_bN5torch10headeronly6detail27GenericPackedTensorAccessorINS8_14TensorAccessorINS3_8ArrayRefIlEEKT_Lm3ENS7_16DefaultPtrTraitsElEENS_6detail16IndexBoundsCheckILm4ElEESE_Lm4ESF_lEENS9_INSA_ISC_SD_Lm3ESF_lEESJ_SD_Lm4ESF_lEE
    .private_segment_fixed_size: 0
    .sgpr_count:     48
    .sgpr_spill_count: 0
    .symbol:         _ZN2at6native12_GLOBAL__N_137upsample_bicubic2d_out_frame_parallelIN3c108BFloat16EfEEviT0_S5_bN5torch10headeronly6detail27GenericPackedTensorAccessorINS8_14TensorAccessorINS3_8ArrayRefIlEEKT_Lm3ENS7_16DefaultPtrTraitsElEENS_6detail16IndexBoundsCheckILm4ElEESE_Lm4ESF_lEENS9_INSA_ISC_SD_Lm3ESF_lEESJ_SD_Lm4ESF_lEE.kd
    .uniform_work_group_size: 1
    .uses_dynamic_stack: false
    .vgpr_count:     68
    .vgpr_spill_count: 0
    .wavefront_size: 32
    .workgroup_processor_mode: 1
  - .args:
      - .offset:         0
        .size:           4
        .value_kind:     by_value
      - .offset:         4
        .size:           4
        .value_kind:     by_value
      - .offset:         8
        .size:           4
        .value_kind:     by_value
      - .offset:         12
        .size:           1
        .value_kind:     by_value
      - .offset:         16
        .size:           72
        .value_kind:     by_value
      - .offset:         88
        .size:           72
        .value_kind:     by_value
      - .offset:         160
        .size:           4
        .value_kind:     hidden_block_count_x
      - .offset:         164
        .size:           4
        .value_kind:     hidden_block_count_y
      - .offset:         168
        .size:           4
        .value_kind:     hidden_block_count_z
      - .offset:         172
        .size:           2
        .value_kind:     hidden_group_size_x
      - .offset:         174
        .size:           2
        .value_kind:     hidden_group_size_y
      - .offset:         176
        .size:           2
        .value_kind:     hidden_group_size_z
      - .offset:         178
        .size:           2
        .value_kind:     hidden_remainder_x
      - .offset:         180
        .size:           2
        .value_kind:     hidden_remainder_y
      - .offset:         182
        .size:           2
        .value_kind:     hidden_remainder_z
      - .offset:         200
        .size:           8
        .value_kind:     hidden_global_offset_x
      - .offset:         208
        .size:           8
        .value_kind:     hidden_global_offset_y
      - .offset:         216
        .size:           8
        .value_kind:     hidden_global_offset_z
      - .offset:         224
        .size:           2
        .value_kind:     hidden_grid_dims
    .group_segment_fixed_size: 0
    .kernarg_segment_align: 8
    .kernarg_segment_size: 416
    .language:       OpenCL C
    .language_version:
      - 2
      - 0
    .max_flat_workgroup_size: 1024
    .name:           _ZN2at6native12_GLOBAL__N_128upsample_bicubic2d_out_frameIN3c108BFloat16EfEEviT0_S5_bN5torch10headeronly6detail27GenericPackedTensorAccessorINS8_14TensorAccessorINS3_8ArrayRefIlEEKT_Lm3ENS7_16DefaultPtrTraitsElEENS_6detail16IndexBoundsCheckILm4ElEESE_Lm4ESF_lEENS9_INSA_ISC_SD_Lm3ESF_lEESJ_SD_Lm4ESF_lEE
    .private_segment_fixed_size: 0
    .sgpr_count:     36
    .sgpr_spill_count: 0
    .symbol:         _ZN2at6native12_GLOBAL__N_128upsample_bicubic2d_out_frameIN3c108BFloat16EfEEviT0_S5_bN5torch10headeronly6detail27GenericPackedTensorAccessorINS8_14TensorAccessorINS3_8ArrayRefIlEEKT_Lm3ENS7_16DefaultPtrTraitsElEENS_6detail16IndexBoundsCheckILm4ElEESE_Lm4ESF_lEENS9_INSA_ISC_SD_Lm3ESF_lEESJ_SD_Lm4ESF_lEE.kd
    .uniform_work_group_size: 1
    .uses_dynamic_stack: false
    .vgpr_count:     82
    .vgpr_spill_count: 0
    .wavefront_size: 32
    .workgroup_processor_mode: 1
  - .args:
      - .offset:         0
        .size:           4
        .value_kind:     by_value
      - .offset:         8
        .size:           8
        .value_kind:     by_value
      - .offset:         16
        .size:           8
        .value_kind:     by_value
      - .offset:         24
        .size:           1
        .value_kind:     by_value
      - .offset:         32
        .size:           72
        .value_kind:     by_value
      - .offset:         104
        .size:           72
        .value_kind:     by_value
      - .offset:         176
        .size:           4
        .value_kind:     hidden_block_count_x
      - .offset:         180
        .size:           4
        .value_kind:     hidden_block_count_y
      - .offset:         184
        .size:           4
        .value_kind:     hidden_block_count_z
      - .offset:         188
        .size:           2
        .value_kind:     hidden_group_size_x
      - .offset:         190
        .size:           2
        .value_kind:     hidden_group_size_y
      - .offset:         192
        .size:           2
        .value_kind:     hidden_group_size_z
      - .offset:         194
        .size:           2
        .value_kind:     hidden_remainder_x
      - .offset:         196
        .size:           2
        .value_kind:     hidden_remainder_y
      - .offset:         198
        .size:           2
        .value_kind:     hidden_remainder_z
      - .offset:         216
        .size:           8
        .value_kind:     hidden_global_offset_x
      - .offset:         224
        .size:           8
        .value_kind:     hidden_global_offset_y
      - .offset:         232
        .size:           8
        .value_kind:     hidden_global_offset_z
      - .offset:         240
        .size:           2
        .value_kind:     hidden_grid_dims
    .group_segment_fixed_size: 0
    .kernarg_segment_align: 8
    .kernarg_segment_size: 432
    .language:       OpenCL C
    .language_version:
      - 2
      - 0
    .max_flat_workgroup_size: 1024
    .name:           _ZN2at6native12_GLOBAL__N_137upsample_bicubic2d_backward_out_frameIddEEviT0_S3_bN5torch10headeronly6detail27GenericPackedTensorAccessorINS6_14TensorAccessorIN3c108ArrayRefIlEET_Lm3ENS5_16DefaultPtrTraitsElEENS_6detail16IndexBoundsCheckILm4ElEESC_Lm4ESD_lEENS7_INS8_ISB_KSC_Lm3ESD_lEESH_SJ_Lm4ESD_lEE
    .private_segment_fixed_size: 0
    .sgpr_count:     34
    .sgpr_spill_count: 0
    .symbol:         _ZN2at6native12_GLOBAL__N_137upsample_bicubic2d_backward_out_frameIddEEviT0_S3_bN5torch10headeronly6detail27GenericPackedTensorAccessorINS6_14TensorAccessorIN3c108ArrayRefIlEET_Lm3ENS5_16DefaultPtrTraitsElEENS_6detail16IndexBoundsCheckILm4ElEESC_Lm4ESD_lEENS7_INS8_ISB_KSC_Lm3ESD_lEESH_SJ_Lm4ESD_lEE.kd
    .uniform_work_group_size: 1
    .uses_dynamic_stack: false
    .vgpr_count:     60
    .vgpr_spill_count: 0
    .wavefront_size: 32
    .workgroup_processor_mode: 1
  - .args:
      - .offset:         0
        .size:           4
        .value_kind:     by_value
      - .offset:         4
        .size:           4
        .value_kind:     by_value
      - .offset:         8
        .size:           4
        .value_kind:     by_value
      - .offset:         12
        .size:           1
        .value_kind:     by_value
      - .offset:         16
        .size:           72
        .value_kind:     by_value
      - .offset:         88
        .size:           72
        .value_kind:     by_value
      - .offset:         160
        .size:           4
        .value_kind:     hidden_block_count_x
      - .offset:         164
        .size:           4
        .value_kind:     hidden_block_count_y
      - .offset:         168
        .size:           4
        .value_kind:     hidden_block_count_z
      - .offset:         172
        .size:           2
        .value_kind:     hidden_group_size_x
      - .offset:         174
        .size:           2
        .value_kind:     hidden_group_size_y
      - .offset:         176
        .size:           2
        .value_kind:     hidden_group_size_z
      - .offset:         178
        .size:           2
        .value_kind:     hidden_remainder_x
      - .offset:         180
        .size:           2
        .value_kind:     hidden_remainder_y
      - .offset:         182
        .size:           2
        .value_kind:     hidden_remainder_z
      - .offset:         200
        .size:           8
        .value_kind:     hidden_global_offset_x
      - .offset:         208
        .size:           8
        .value_kind:     hidden_global_offset_y
      - .offset:         216
        .size:           8
        .value_kind:     hidden_global_offset_z
      - .offset:         224
        .size:           2
        .value_kind:     hidden_grid_dims
    .group_segment_fixed_size: 0
    .kernarg_segment_align: 8
    .kernarg_segment_size: 416
    .language:       OpenCL C
    .language_version:
      - 2
      - 0
    .max_flat_workgroup_size: 1024
    .name:           _ZN2at6native12_GLOBAL__N_137upsample_bicubic2d_backward_out_frameIffEEviT0_S3_bN5torch10headeronly6detail27GenericPackedTensorAccessorINS6_14TensorAccessorIN3c108ArrayRefIlEET_Lm3ENS5_16DefaultPtrTraitsElEENS_6detail16IndexBoundsCheckILm4ElEESC_Lm4ESD_lEENS7_INS8_ISB_KSC_Lm3ESD_lEESH_SJ_Lm4ESD_lEE
    .private_segment_fixed_size: 0
    .sgpr_count:     34
    .sgpr_spill_count: 0
    .symbol:         _ZN2at6native12_GLOBAL__N_137upsample_bicubic2d_backward_out_frameIffEEviT0_S3_bN5torch10headeronly6detail27GenericPackedTensorAccessorINS6_14TensorAccessorIN3c108ArrayRefIlEET_Lm3ENS5_16DefaultPtrTraitsElEENS_6detail16IndexBoundsCheckILm4ElEESC_Lm4ESD_lEENS7_INS8_ISB_KSC_Lm3ESD_lEESH_SJ_Lm4ESD_lEE.kd
    .uniform_work_group_size: 1
    .uses_dynamic_stack: false
    .vgpr_count:     40
    .vgpr_spill_count: 0
    .wavefront_size: 32
    .workgroup_processor_mode: 1
  - .args:
      - .offset:         0
        .size:           4
        .value_kind:     by_value
      - .offset:         4
        .size:           4
        .value_kind:     by_value
      - .offset:         8
        .size:           4
        .value_kind:     by_value
      - .offset:         12
        .size:           1
        .value_kind:     by_value
      - .offset:         16
        .size:           72
        .value_kind:     by_value
      - .offset:         88
        .size:           72
        .value_kind:     by_value
      - .offset:         160
        .size:           4
        .value_kind:     hidden_block_count_x
      - .offset:         164
        .size:           4
        .value_kind:     hidden_block_count_y
      - .offset:         168
        .size:           4
        .value_kind:     hidden_block_count_z
      - .offset:         172
        .size:           2
        .value_kind:     hidden_group_size_x
      - .offset:         174
        .size:           2
        .value_kind:     hidden_group_size_y
      - .offset:         176
        .size:           2
        .value_kind:     hidden_group_size_z
      - .offset:         178
        .size:           2
        .value_kind:     hidden_remainder_x
      - .offset:         180
        .size:           2
        .value_kind:     hidden_remainder_y
      - .offset:         182
        .size:           2
        .value_kind:     hidden_remainder_z
      - .offset:         200
        .size:           8
        .value_kind:     hidden_global_offset_x
      - .offset:         208
        .size:           8
        .value_kind:     hidden_global_offset_y
      - .offset:         216
        .size:           8
        .value_kind:     hidden_global_offset_z
      - .offset:         224
        .size:           2
        .value_kind:     hidden_grid_dims
    .group_segment_fixed_size: 0
    .kernarg_segment_align: 8
    .kernarg_segment_size: 416
    .language:       OpenCL C
    .language_version:
      - 2
      - 0
    .max_flat_workgroup_size: 1024
    .name:           _ZN2at6native12_GLOBAL__N_137upsample_bicubic2d_backward_out_frameIN3c104HalfEfEEviT0_S5_bN5torch10headeronly6detail27GenericPackedTensorAccessorINS8_14TensorAccessorINS3_8ArrayRefIlEET_Lm3ENS7_16DefaultPtrTraitsElEENS_6detail16IndexBoundsCheckILm4ElEESD_Lm4ESE_lEENS9_INSA_ISC_KSD_Lm3ESE_lEESI_SK_Lm4ESE_lEE
    .private_segment_fixed_size: 0
    .sgpr_count:     34
    .sgpr_spill_count: 0
    .symbol:         _ZN2at6native12_GLOBAL__N_137upsample_bicubic2d_backward_out_frameIN3c104HalfEfEEviT0_S5_bN5torch10headeronly6detail27GenericPackedTensorAccessorINS8_14TensorAccessorINS3_8ArrayRefIlEET_Lm3ENS7_16DefaultPtrTraitsElEENS_6detail16IndexBoundsCheckILm4ElEESD_Lm4ESE_lEENS9_INSA_ISC_KSD_Lm3ESE_lEESI_SK_Lm4ESE_lEE.kd
    .uniform_work_group_size: 1
    .uses_dynamic_stack: false
    .vgpr_count:     34
    .vgpr_spill_count: 0
    .wavefront_size: 32
    .workgroup_processor_mode: 1
  - .args:
      - .offset:         0
        .size:           4
        .value_kind:     by_value
      - .offset:         4
        .size:           4
        .value_kind:     by_value
      - .offset:         8
        .size:           4
        .value_kind:     by_value
      - .offset:         12
        .size:           1
        .value_kind:     by_value
      - .offset:         16
        .size:           72
        .value_kind:     by_value
      - .offset:         88
        .size:           72
        .value_kind:     by_value
      - .offset:         160
        .size:           4
        .value_kind:     hidden_block_count_x
      - .offset:         164
        .size:           4
        .value_kind:     hidden_block_count_y
      - .offset:         168
        .size:           4
        .value_kind:     hidden_block_count_z
      - .offset:         172
        .size:           2
        .value_kind:     hidden_group_size_x
      - .offset:         174
        .size:           2
        .value_kind:     hidden_group_size_y
      - .offset:         176
        .size:           2
        .value_kind:     hidden_group_size_z
      - .offset:         178
        .size:           2
        .value_kind:     hidden_remainder_x
      - .offset:         180
        .size:           2
        .value_kind:     hidden_remainder_y
      - .offset:         182
        .size:           2
        .value_kind:     hidden_remainder_z
      - .offset:         200
        .size:           8
        .value_kind:     hidden_global_offset_x
      - .offset:         208
        .size:           8
        .value_kind:     hidden_global_offset_y
      - .offset:         216
        .size:           8
        .value_kind:     hidden_global_offset_z
      - .offset:         224
        .size:           2
        .value_kind:     hidden_grid_dims
    .group_segment_fixed_size: 0
    .kernarg_segment_align: 8
    .kernarg_segment_size: 416
    .language:       OpenCL C
    .language_version:
      - 2
      - 0
    .max_flat_workgroup_size: 1024
    .name:           _ZN2at6native12_GLOBAL__N_137upsample_bicubic2d_backward_out_frameIN3c108BFloat16EfEEviT0_S5_bN5torch10headeronly6detail27GenericPackedTensorAccessorINS8_14TensorAccessorINS3_8ArrayRefIlEET_Lm3ENS7_16DefaultPtrTraitsElEENS_6detail16IndexBoundsCheckILm4ElEESD_Lm4ESE_lEENS9_INSA_ISC_KSD_Lm3ESE_lEESI_SK_Lm4ESE_lEE
    .private_segment_fixed_size: 0
    .sgpr_count:     34
    .sgpr_spill_count: 0
    .symbol:         _ZN2at6native12_GLOBAL__N_137upsample_bicubic2d_backward_out_frameIN3c108BFloat16EfEEviT0_S5_bN5torch10headeronly6detail27GenericPackedTensorAccessorINS8_14TensorAccessorINS3_8ArrayRefIlEET_Lm3ENS7_16DefaultPtrTraitsElEENS_6detail16IndexBoundsCheckILm4ElEESD_Lm4ESE_lEENS9_INSA_ISC_KSD_Lm3ESE_lEESI_SK_Lm4ESE_lEE.kd
    .uniform_work_group_size: 1
    .uses_dynamic_stack: false
    .vgpr_count:     36
    .vgpr_spill_count: 0
    .wavefront_size: 32
    .workgroup_processor_mode: 1
amdhsa.target:   amdgcn-amd-amdhsa--gfx1030
amdhsa.version:
  - 1
  - 2
...

	.end_amdgpu_metadata
